;; amdgpu-corpus repo=ROCm/rocFFT kind=compiled arch=gfx906 opt=O3
	.text
	.amdgcn_target "amdgcn-amd-amdhsa--gfx906"
	.amdhsa_code_object_version 6
	.protected	fft_rtc_back_len663_factors_17_13_3_wgs_51_tpt_51_half_ip_CI_sbrr_dirReg ; -- Begin function fft_rtc_back_len663_factors_17_13_3_wgs_51_tpt_51_half_ip_CI_sbrr_dirReg
	.globl	fft_rtc_back_len663_factors_17_13_3_wgs_51_tpt_51_half_ip_CI_sbrr_dirReg
	.p2align	8
	.type	fft_rtc_back_len663_factors_17_13_3_wgs_51_tpt_51_half_ip_CI_sbrr_dirReg,@function
fft_rtc_back_len663_factors_17_13_3_wgs_51_tpt_51_half_ip_CI_sbrr_dirReg: ; @fft_rtc_back_len663_factors_17_13_3_wgs_51_tpt_51_half_ip_CI_sbrr_dirReg
; %bb.0:
	s_load_dwordx2 s[2:3], s[4:5], 0x18
	s_load_dwordx4 s[8:11], s[4:5], 0x0
	s_load_dwordx2 s[14:15], s[4:5], 0x50
	v_mul_u32_u24_e32 v1, 0x506, v0
	v_add_u32_sdwa v5, s6, v1 dst_sel:DWORD dst_unused:UNUSED_PAD src0_sel:DWORD src1_sel:WORD_1
	s_waitcnt lgkmcnt(0)
	s_load_dwordx2 s[12:13], s[2:3], 0x0
	v_cmp_lt_u64_e64 s[0:1], s[10:11], 2
	v_mov_b32_e32 v3, 0
	v_mov_b32_e32 v1, 0
	;; [unrolled: 1-line block ×3, first 2 shown]
	s_and_b64 vcc, exec, s[0:1]
	v_mov_b32_e32 v2, 0
	s_cbranch_vccnz .LBB0_8
; %bb.1:
	s_load_dwordx2 s[0:1], s[4:5], 0x10
	s_add_u32 s6, s2, 8
	s_addc_u32 s7, s3, 0
	v_mov_b32_e32 v1, 0
	v_mov_b32_e32 v2, 0
	s_waitcnt lgkmcnt(0)
	s_add_u32 s16, s0, 8
	s_addc_u32 s17, s1, 0
	s_mov_b64 s[18:19], 1
.LBB0_2:                                ; =>This Inner Loop Header: Depth=1
	s_load_dwordx2 s[20:21], s[16:17], 0x0
                                        ; implicit-def: $vgpr7_vgpr8
	s_waitcnt lgkmcnt(0)
	v_or_b32_e32 v4, s21, v6
	v_cmp_ne_u64_e32 vcc, 0, v[3:4]
	s_and_saveexec_b64 s[0:1], vcc
	s_xor_b64 s[22:23], exec, s[0:1]
	s_cbranch_execz .LBB0_4
; %bb.3:                                ;   in Loop: Header=BB0_2 Depth=1
	v_cvt_f32_u32_e32 v4, s20
	v_cvt_f32_u32_e32 v7, s21
	s_sub_u32 s0, 0, s20
	s_subb_u32 s1, 0, s21
	v_mac_f32_e32 v4, 0x4f800000, v7
	v_rcp_f32_e32 v4, v4
	v_mul_f32_e32 v4, 0x5f7ffffc, v4
	v_mul_f32_e32 v7, 0x2f800000, v4
	v_trunc_f32_e32 v7, v7
	v_mac_f32_e32 v4, 0xcf800000, v7
	v_cvt_u32_f32_e32 v7, v7
	v_cvt_u32_f32_e32 v4, v4
	v_mul_lo_u32 v8, s0, v7
	v_mul_hi_u32 v9, s0, v4
	v_mul_lo_u32 v11, s1, v4
	v_mul_lo_u32 v10, s0, v4
	v_add_u32_e32 v8, v9, v8
	v_add_u32_e32 v8, v8, v11
	v_mul_hi_u32 v9, v4, v10
	v_mul_lo_u32 v11, v4, v8
	v_mul_hi_u32 v13, v4, v8
	v_mul_hi_u32 v12, v7, v10
	v_mul_lo_u32 v10, v7, v10
	v_mul_hi_u32 v14, v7, v8
	v_add_co_u32_e32 v9, vcc, v9, v11
	v_addc_co_u32_e32 v11, vcc, 0, v13, vcc
	v_mul_lo_u32 v8, v7, v8
	v_add_co_u32_e32 v9, vcc, v9, v10
	v_addc_co_u32_e32 v9, vcc, v11, v12, vcc
	v_addc_co_u32_e32 v10, vcc, 0, v14, vcc
	v_add_co_u32_e32 v8, vcc, v9, v8
	v_addc_co_u32_e32 v9, vcc, 0, v10, vcc
	v_add_co_u32_e32 v4, vcc, v4, v8
	v_addc_co_u32_e32 v7, vcc, v7, v9, vcc
	v_mul_lo_u32 v8, s0, v7
	v_mul_hi_u32 v9, s0, v4
	v_mul_lo_u32 v10, s1, v4
	v_mul_lo_u32 v11, s0, v4
	v_add_u32_e32 v8, v9, v8
	v_add_u32_e32 v8, v8, v10
	v_mul_lo_u32 v12, v4, v8
	v_mul_hi_u32 v13, v4, v11
	v_mul_hi_u32 v14, v4, v8
	;; [unrolled: 1-line block ×3, first 2 shown]
	v_mul_lo_u32 v11, v7, v11
	v_mul_hi_u32 v9, v7, v8
	v_add_co_u32_e32 v12, vcc, v13, v12
	v_addc_co_u32_e32 v13, vcc, 0, v14, vcc
	v_mul_lo_u32 v8, v7, v8
	v_add_co_u32_e32 v11, vcc, v12, v11
	v_addc_co_u32_e32 v10, vcc, v13, v10, vcc
	v_addc_co_u32_e32 v9, vcc, 0, v9, vcc
	v_add_co_u32_e32 v8, vcc, v10, v8
	v_addc_co_u32_e32 v9, vcc, 0, v9, vcc
	v_add_co_u32_e32 v4, vcc, v4, v8
	v_addc_co_u32_e32 v9, vcc, v7, v9, vcc
	v_mad_u64_u32 v[7:8], s[0:1], v5, v9, 0
	v_mul_hi_u32 v10, v5, v4
	v_add_co_u32_e32 v11, vcc, v10, v7
	v_addc_co_u32_e32 v12, vcc, 0, v8, vcc
	v_mad_u64_u32 v[7:8], s[0:1], v6, v4, 0
	v_mad_u64_u32 v[9:10], s[0:1], v6, v9, 0
	v_add_co_u32_e32 v4, vcc, v11, v7
	v_addc_co_u32_e32 v4, vcc, v12, v8, vcc
	v_addc_co_u32_e32 v7, vcc, 0, v10, vcc
	v_add_co_u32_e32 v4, vcc, v4, v9
	v_addc_co_u32_e32 v9, vcc, 0, v7, vcc
	v_mul_lo_u32 v10, s21, v4
	v_mul_lo_u32 v11, s20, v9
	v_mad_u64_u32 v[7:8], s[0:1], s20, v4, 0
	v_add3_u32 v8, v8, v11, v10
	v_sub_u32_e32 v10, v6, v8
	v_mov_b32_e32 v11, s21
	v_sub_co_u32_e32 v7, vcc, v5, v7
	v_subb_co_u32_e64 v10, s[0:1], v10, v11, vcc
	v_subrev_co_u32_e64 v11, s[0:1], s20, v7
	v_subbrev_co_u32_e64 v10, s[0:1], 0, v10, s[0:1]
	v_cmp_le_u32_e64 s[0:1], s21, v10
	v_cndmask_b32_e64 v12, 0, -1, s[0:1]
	v_cmp_le_u32_e64 s[0:1], s20, v11
	v_cndmask_b32_e64 v11, 0, -1, s[0:1]
	v_cmp_eq_u32_e64 s[0:1], s21, v10
	v_cndmask_b32_e64 v10, v12, v11, s[0:1]
	v_add_co_u32_e64 v11, s[0:1], 2, v4
	v_addc_co_u32_e64 v12, s[0:1], 0, v9, s[0:1]
	v_add_co_u32_e64 v13, s[0:1], 1, v4
	v_addc_co_u32_e64 v14, s[0:1], 0, v9, s[0:1]
	v_subb_co_u32_e32 v8, vcc, v6, v8, vcc
	v_cmp_ne_u32_e64 s[0:1], 0, v10
	v_cmp_le_u32_e32 vcc, s21, v8
	v_cndmask_b32_e64 v10, v14, v12, s[0:1]
	v_cndmask_b32_e64 v12, 0, -1, vcc
	v_cmp_le_u32_e32 vcc, s20, v7
	v_cndmask_b32_e64 v7, 0, -1, vcc
	v_cmp_eq_u32_e32 vcc, s21, v8
	v_cndmask_b32_e32 v7, v12, v7, vcc
	v_cmp_ne_u32_e32 vcc, 0, v7
	v_cndmask_b32_e64 v7, v13, v11, s[0:1]
	v_cndmask_b32_e32 v8, v9, v10, vcc
	v_cndmask_b32_e32 v7, v4, v7, vcc
.LBB0_4:                                ;   in Loop: Header=BB0_2 Depth=1
	s_andn2_saveexec_b64 s[0:1], s[22:23]
	s_cbranch_execz .LBB0_6
; %bb.5:                                ;   in Loop: Header=BB0_2 Depth=1
	v_cvt_f32_u32_e32 v4, s20
	s_sub_i32 s22, 0, s20
	v_rcp_iflag_f32_e32 v4, v4
	v_mul_f32_e32 v4, 0x4f7ffffe, v4
	v_cvt_u32_f32_e32 v4, v4
	v_mul_lo_u32 v7, s22, v4
	v_mul_hi_u32 v7, v4, v7
	v_add_u32_e32 v4, v4, v7
	v_mul_hi_u32 v4, v5, v4
	v_mul_lo_u32 v7, v4, s20
	v_add_u32_e32 v8, 1, v4
	v_sub_u32_e32 v7, v5, v7
	v_subrev_u32_e32 v9, s20, v7
	v_cmp_le_u32_e32 vcc, s20, v7
	v_cndmask_b32_e32 v7, v7, v9, vcc
	v_cndmask_b32_e32 v4, v4, v8, vcc
	v_add_u32_e32 v8, 1, v4
	v_cmp_le_u32_e32 vcc, s20, v7
	v_cndmask_b32_e32 v7, v4, v8, vcc
	v_mov_b32_e32 v8, v3
.LBB0_6:                                ;   in Loop: Header=BB0_2 Depth=1
	s_or_b64 exec, exec, s[0:1]
	v_mul_lo_u32 v4, v8, s20
	v_mul_lo_u32 v11, v7, s21
	v_mad_u64_u32 v[9:10], s[0:1], v7, s20, 0
	s_load_dwordx2 s[0:1], s[6:7], 0x0
	s_add_u32 s18, s18, 1
	v_add3_u32 v4, v10, v11, v4
	v_sub_co_u32_e32 v5, vcc, v5, v9
	v_subb_co_u32_e32 v4, vcc, v6, v4, vcc
	s_waitcnt lgkmcnt(0)
	v_mul_lo_u32 v4, s0, v4
	v_mul_lo_u32 v6, s1, v5
	v_mad_u64_u32 v[1:2], s[0:1], s0, v5, v[1:2]
	s_addc_u32 s19, s19, 0
	s_add_u32 s6, s6, 8
	v_add3_u32 v2, v6, v2, v4
	v_mov_b32_e32 v4, s10
	v_mov_b32_e32 v5, s11
	s_addc_u32 s7, s7, 0
	v_cmp_ge_u64_e32 vcc, s[18:19], v[4:5]
	s_add_u32 s16, s16, 8
	s_addc_u32 s17, s17, 0
	s_cbranch_vccnz .LBB0_9
; %bb.7:                                ;   in Loop: Header=BB0_2 Depth=1
	v_mov_b32_e32 v5, v7
	v_mov_b32_e32 v6, v8
	s_branch .LBB0_2
.LBB0_8:
	v_mov_b32_e32 v8, v6
	v_mov_b32_e32 v7, v5
.LBB0_9:
	s_lshl_b64 s[0:1], s[10:11], 3
	s_add_u32 s0, s2, s0
	s_addc_u32 s1, s3, s1
	s_load_dwordx2 s[2:3], s[0:1], 0x0
	s_load_dwordx2 s[6:7], s[4:5], 0x20
                                        ; implicit-def: $vgpr22
                                        ; implicit-def: $vgpr6
                                        ; implicit-def: $vgpr9
                                        ; implicit-def: $vgpr10
                                        ; implicit-def: $vgpr11
                                        ; implicit-def: $vgpr12
                                        ; implicit-def: $vgpr13
                                        ; implicit-def: $vgpr14
                                        ; implicit-def: $vgpr15
                                        ; implicit-def: $vgpr16
                                        ; implicit-def: $vgpr17
                                        ; implicit-def: $vgpr24
	s_waitcnt lgkmcnt(0)
	v_mad_u64_u32 v[1:2], s[0:1], s2, v7, v[1:2]
	s_mov_b32 s0, 0x5050506
	v_mul_lo_u32 v3, s2, v8
	v_mul_lo_u32 v4, s3, v7
	v_mul_hi_u32 v5, v0, s0
	v_cmp_gt_u64_e32 vcc, s[6:7], v[7:8]
                                        ; implicit-def: $vgpr7
                                        ; implicit-def: $vgpr8
	v_add3_u32 v2, v4, v2, v3
	v_mul_u32_u24_e32 v3, 51, v5
	v_sub_u32_e32 v18, v0, v3
	v_cmp_gt_u32_e64 s[0:1], 39, v18
	v_lshlrev_b64 v[0:1], 2, v[1:2]
	s_and_b64 s[2:3], vcc, s[0:1]
	v_mov_b32_e32 v2, 0
                                        ; implicit-def: $vgpr4
                                        ; implicit-def: $vgpr5
	s_and_saveexec_b64 s[4:5], s[2:3]
	s_cbranch_execz .LBB0_11
; %bb.10:
	v_mad_u64_u32 v[2:3], s[2:3], s12, v18, 0
	v_add_u32_e32 v7, 39, v18
	v_mov_b32_e32 v6, s15
	v_mad_u64_u32 v[3:4], s[2:3], s13, v18, v[3:4]
	v_mad_u64_u32 v[4:5], s[2:3], s12, v7, 0
	v_add_co_u32_e64 v10, s[2:3], s14, v0
	v_addc_co_u32_e64 v11, s[2:3], v6, v1, s[2:3]
	v_mad_u64_u32 v[5:6], s[2:3], s13, v7, v[5:6]
	v_add_u32_e32 v8, 0x4e, v18
	v_mad_u64_u32 v[6:7], s[2:3], s12, v8, 0
	v_lshlrev_b64 v[2:3], 2, v[2:3]
	v_add_co_u32_e64 v19, s[2:3], v10, v2
	v_addc_co_u32_e64 v20, s[2:3], v11, v3, s[2:3]
	v_lshlrev_b64 v[2:3], 2, v[4:5]
	v_mov_b32_e32 v4, v7
	v_mad_u64_u32 v[4:5], s[2:3], s13, v8, v[4:5]
	v_add_u32_e32 v5, 0x75, v18
	v_mad_u64_u32 v[8:9], s[2:3], s12, v5, 0
	v_add_co_u32_e64 v21, s[2:3], v10, v2
	v_mov_b32_e32 v7, v4
	v_mov_b32_e32 v4, v9
	v_addc_co_u32_e64 v22, s[2:3], v11, v3, s[2:3]
	v_lshlrev_b64 v[2:3], 2, v[6:7]
	v_mad_u64_u32 v[4:5], s[2:3], s13, v5, v[4:5]
	v_add_u32_e32 v7, 0x9c, v18
	v_mad_u64_u32 v[5:6], s[2:3], s12, v7, 0
	v_add_co_u32_e64 v23, s[2:3], v10, v2
	v_mov_b32_e32 v9, v4
	v_mov_b32_e32 v4, v6
	v_addc_co_u32_e64 v24, s[2:3], v11, v3, s[2:3]
	v_lshlrev_b64 v[2:3], 2, v[8:9]
	v_mad_u64_u32 v[6:7], s[2:3], s13, v7, v[4:5]
	v_add_u32_e32 v9, 0xc3, v18
	v_mad_u64_u32 v[7:8], s[2:3], s12, v9, 0
	v_add_co_u32_e64 v25, s[2:3], v10, v2
	v_mov_b32_e32 v4, v8
	v_addc_co_u32_e64 v26, s[2:3], v11, v3, s[2:3]
	v_lshlrev_b64 v[2:3], 2, v[5:6]
	v_mad_u64_u32 v[4:5], s[2:3], s13, v9, v[4:5]
	v_add_u32_e32 v9, 0xea, v18
	v_mad_u64_u32 v[5:6], s[2:3], s12, v9, 0
	v_add_co_u32_e64 v27, s[2:3], v10, v2
	v_mov_b32_e32 v8, v4
	v_mov_b32_e32 v4, v6
	v_addc_co_u32_e64 v28, s[2:3], v11, v3, s[2:3]
	v_lshlrev_b64 v[2:3], 2, v[7:8]
	v_mad_u64_u32 v[6:7], s[2:3], s13, v9, v[4:5]
	v_add_u32_e32 v9, 0x111, v18
	v_mad_u64_u32 v[7:8], s[2:3], s12, v9, 0
	v_add_co_u32_e64 v29, s[2:3], v10, v2
	;; [unrolled: 15-line block ×6, first 2 shown]
	v_mov_b32_e32 v4, v8
	v_addc_co_u32_e64 v46, s[2:3], v11, v3, s[2:3]
	v_lshlrev_b64 v[2:3], 2, v[5:6]
	v_mad_u64_u32 v[4:5], s[2:3], s13, v9, v[4:5]
	v_add_u32_e32 v9, 0x270, v18
	v_mad_u64_u32 v[5:6], s[2:3], s12, v9, 0
	v_add_co_u32_e64 v47, s[2:3], v10, v2
	v_mov_b32_e32 v8, v4
	v_mov_b32_e32 v4, v6
	v_addc_co_u32_e64 v48, s[2:3], v11, v3, s[2:3]
	v_lshlrev_b64 v[2:3], 2, v[7:8]
	v_mad_u64_u32 v[6:7], s[2:3], s13, v9, v[4:5]
	v_add_co_u32_e64 v49, s[2:3], v10, v2
	v_addc_co_u32_e64 v50, s[2:3], v11, v3, s[2:3]
	v_lshlrev_b64 v[2:3], 2, v[5:6]
	v_add_co_u32_e64 v51, s[2:3], v10, v2
	v_addc_co_u32_e64 v52, s[2:3], v11, v3, s[2:3]
	global_load_dword v2, v[19:20], off
	global_load_dword v17, v[21:22], off
	;; [unrolled: 1-line block ×15, first 2 shown]
                                        ; kill: killed $vgpr19 killed $vgpr20
                                        ; kill: killed $vgpr31 killed $vgpr32
                                        ; kill: killed $vgpr43 killed $vgpr44
                                        ; kill: killed $vgpr21 killed $vgpr22
                                        ; kill: killed $vgpr33 killed $vgpr34
                                        ; kill: killed $vgpr45 killed $vgpr46
                                        ; kill: killed $vgpr23 killed $vgpr24
                                        ; kill: killed $vgpr35 killed $vgpr36
                                        ; kill: killed $vgpr47 killed $vgpr48
                                        ; kill: killed $vgpr25 killed $vgpr26
                                        ; kill: killed $vgpr37 killed $vgpr38
                                        ; kill: killed $vgpr27 killed $vgpr28
                                        ; kill: killed $vgpr39 killed $vgpr40
                                        ; kill: killed $vgpr29 killed $vgpr30
                                        ; kill: killed $vgpr41 killed $vgpr42
	global_load_dword v22, v[49:50], off
	global_load_dword v24, v[51:52], off
.LBB0_11:
	s_or_b64 exec, exec, s[4:5]
	s_waitcnt vmcnt(0)
	v_pk_add_f16 v36, v17, v24 neg_lo:[0,1] neg_hi:[0,1]
	v_lshrrev_b32_e32 v39, 16, v36
	v_pk_add_f16 v38, v4, v22 neg_lo:[0,1] neg_hi:[0,1]
	v_pk_add_f16 v23, v17, v24
	s_movk_i32 s4, 0x3722
	v_mul_f16_e32 v68, 0xbb29, v39
	v_lshrrev_b32_e32 v47, 16, v38
	v_lshrrev_b32_e32 v31, 16, v23
	v_mul_f16_e32 v70, 0xbb29, v36
	v_fma_f16 v3, v23, s4, -v68
	v_pk_add_f16 v25, v4, v22
	s_mov_b32 s6, 0xb8d2
	v_mul_f16_e32 v69, 0xba62, v47
	v_add_f16_e32 v3, v2, v3
	v_fma_f16 v19, v31, s4, v70
	s_movk_i32 s5, 0x2de8
	v_mul_f16_e32 v75, 0xbbf7, v39
	v_lshrrev_b32_e32 v33, 16, v25
	v_mul_f16_e32 v72, 0xba62, v38
	v_fma_f16 v26, v25, s6, -v69
	v_add_f16_sdwa v19, v2, v19 dst_sel:DWORD dst_unused:UNUSED_PAD src0_sel:WORD_1 src1_sel:DWORD
	v_mul_f16_e32 v77, 0xbbf7, v36
	v_fma_f16 v20, v23, s5, -v75
	v_add_f16_e32 v3, v3, v26
	v_fma_f16 v26, v33, s6, v72
	s_mov_b32 s7, 0xbbdd
	v_mul_f16_e32 v78, 0xb1e1, v47
	v_add_f16_e32 v20, v2, v20
	v_fma_f16 v21, v31, s5, v77
	v_add_f16_e32 v19, v19, v26
	v_mul_f16_e32 v82, 0xb1e1, v38
	v_fma_f16 v26, v25, s7, -v78
	v_pk_add_f16 v41, v5, v6 neg_lo:[0,1] neg_hi:[0,1]
	v_add_f16_sdwa v21, v2, v21 dst_sel:DWORD dst_unused:UNUSED_PAD src0_sel:WORD_1 src1_sel:DWORD
	v_add_f16_e32 v20, v20, v26
	v_fma_f16 v26, v33, s7, v82
	v_lshrrev_b32_e32 v53, 16, v41
	v_add_f16_e32 v21, v21, v26
	v_pk_add_f16 v26, v5, v6
	v_mul_f16_e32 v71, 0x31e1, v53
	v_lshrrev_b32_e32 v34, 16, v26
	v_mul_f16_e32 v74, 0x31e1, v41
	v_fma_f16 v27, v26, s7, -v71
	v_add_f16_e32 v3, v3, v27
	v_fma_f16 v27, v34, s7, v74
	s_mov_b32 s10, 0xb461
	v_mul_f16_e32 v80, 0x3bb2, v53
	v_add_f16_e32 v19, v19, v27
	v_fma_f16 v27, v26, s10, -v80
	v_mul_f16_e32 v86, 0x3bb2, v41
	v_pk_add_f16 v52, v7, v8 neg_lo:[0,1] neg_hi:[0,1]
	v_add_f16_e32 v20, v20, v27
	v_fma_f16 v27, v34, s10, v86
	v_lshrrev_b32_e32 v56, 16, v52
	v_add_f16_e32 v21, v21, v27
	v_pk_add_f16 v27, v7, v8
	v_mul_f16_e32 v73, 0x3bb2, v56
	v_fma_f16 v28, v27, s10, -v73
	v_lshrrev_b32_e32 v35, 16, v27
	v_mul_f16_e32 v79, 0x3bb2, v52
	v_add_f16_e32 v3, v3, v28
	v_fma_f16 v28, v35, s10, v79
	s_movk_i32 s11, 0x3b76
	v_mul_f16_e32 v84, 0x35c8, v56
	v_add_f16_e32 v19, v19, v28
	v_fma_f16 v28, v27, s11, -v84
	v_mul_f16_e32 v90, 0x35c8, v52
	v_pk_add_f16 v55, v9, v10 neg_lo:[0,1] neg_hi:[0,1]
	v_add_f16_e32 v20, v20, v28
	v_fma_f16 v28, v35, s11, v90
	v_lshrrev_b32_e32 v59, 16, v55
	v_add_f16_e32 v21, v21, v28
	s_movk_i32 s16, 0x39e9
	v_pk_add_f16 v28, v9, v10
	v_mul_f16_e32 v76, 0x3964, v59
	v_fma_f16 v29, v28, s16, -v76
	v_lshrrev_b32_e32 v37, 16, v28
	v_mul_f16_e32 v83, 0x3964, v55
	v_add_f16_e32 v3, v3, v29
	v_fma_f16 v29, v37, s16, v83
	v_mul_f16_e32 v88, 0xbb29, v59
	v_add_f16_e32 v19, v19, v29
	v_fma_f16 v29, v28, s4, -v88
	v_mul_f16_e32 v94, 0xbb29, v55
	v_pk_add_f16 v58, v11, v12 neg_lo:[0,1] neg_hi:[0,1]
	v_add_f16_e32 v20, v20, v29
	v_fma_f16 v29, v37, s4, v94
	v_lshrrev_b32_e32 v62, 16, v58
	v_add_f16_e32 v21, v21, v29
	v_pk_add_f16 v29, v11, v12
	v_mul_f16_e32 v81, 0xb5c8, v62
	v_fma_f16 v30, v29, s11, -v81
	v_lshrrev_b32_e32 v40, 16, v29
	v_mul_f16_e32 v87, 0xb5c8, v58
	v_add_f16_e32 v3, v3, v30
	v_fma_f16 v30, v40, s11, v87
	s_mov_b32 s17, 0xbacd
	v_mul_f16_e32 v92, 0xb836, v62
	v_add_f16_e32 v19, v19, v30
	v_fma_f16 v30, v29, s17, -v92
	v_mul_f16_e32 v96, 0xb836, v58
	v_pk_add_f16 v61, v13, v14 neg_lo:[0,1] neg_hi:[0,1]
	v_add_f16_e32 v20, v20, v30
	v_fma_f16 v30, v40, s17, v96
	v_lshrrev_b32_e32 v64, 16, v61
	v_add_f16_e32 v21, v21, v30
	v_pk_add_f16 v30, v13, v14
	v_mul_f16_e32 v85, 0xbbf7, v64
	v_fma_f16 v32, v30, s5, -v85
	v_lshrrev_b32_e32 v49, 16, v30
	v_mul_f16_e32 v91, 0xbbf7, v61
	v_add_f16_e32 v3, v3, v32
	v_fma_f16 v32, v49, s5, v91
	v_mul_f16_e32 v95, 0x3a62, v64
	v_pk_add_f16 v63, v15, v16 neg_lo:[0,1] neg_hi:[0,1]
	v_add_f16_e32 v42, v19, v32
	v_fma_f16 v19, v30, s6, -v95
	v_mul_f16_e32 v97, 0x3a62, v61
	v_lshrrev_b32_e32 v66, 16, v63
	v_add_f16_e32 v43, v20, v19
	v_fma_f16 v19, v49, s6, v97
	v_pk_add_f16 v32, v15, v16
	v_mul_f16_e32 v89, 0xb836, v66
	v_add_f16_e32 v21, v21, v19
	v_fma_f16 v19, v32, s17, -v89
	v_lshrrev_b32_e32 v54, 16, v32
	v_mul_f16_e32 v93, 0xb836, v63
	v_add_f16_e32 v19, v3, v19
	v_fma_f16 v3, v54, s17, v93
	v_mul_f16_e32 v99, 0x3964, v63
	v_add_f16_e32 v20, v42, v3
	v_fma_f16 v3, v54, s16, v99
	v_mul_f16_e32 v98, 0x3964, v66
	v_add_f16_e32 v21, v21, v3
	v_fma_f16 v3, v32, s16, -v98
	s_mov_b32 s21, 0xbbf7
	s_mov_b32 s24, 0xba62
	;; [unrolled: 1-line block ×3, first 2 shown]
	s_movk_i32 s25, 0x35c8
	s_movk_i32 s18, 0x3964
	s_mov_b32 s20, 0xb5c8
	s_mov_b32 s23, 0xb836
	s_movk_i32 s22, 0x3a62
	v_add_f16_e32 v3, v43, v3
	s_and_saveexec_b64 s[2:3], s[0:1]
	s_cbranch_execz .LBB0_13
; %bb.12:
	v_pk_mul_f16 v57, v23, s7 op_sel_hi:[1,0]
	v_pk_mul_f16 v42, v36, s19 op_sel_hi:[1,0]
	;; [unrolled: 1-line block ×4, first 2 shown]
	v_add_f16_sdwa v57, v42, v57 dst_sel:DWORD dst_unused:UNUSED_PAD src0_sel:WORD_1 src1_sel:DWORD
	v_pk_mul_f16 v65, v26, s17 op_sel_hi:[1,0]
	v_pk_mul_f16 v44, v41, s23 op_sel_hi:[1,0]
	v_add_f16_sdwa v60, v43, v60 dst_sel:DWORD dst_unused:UNUSED_PAD src0_sel:WORD_1 src1_sel:DWORD
	v_add_f16_e32 v57, v2, v57
	v_pk_mul_f16 v67, v27, s16 op_sel_hi:[1,0]
	v_pk_mul_f16 v45, v52, s18 op_sel_hi:[1,0]
	v_add_f16_e32 v57, v57, v60
	v_add_f16_sdwa v60, v44, v65 dst_sel:DWORD dst_unused:UNUSED_PAD src0_sel:WORD_1 src1_sel:DWORD
	v_pk_mul_f16 v100, v28, s6 op_sel_hi:[1,0]
	v_pk_mul_f16 v46, v55, s24 op_sel_hi:[1,0]
	s_movk_i32 s0, 0x3b29
	v_add_f16_e32 v57, v57, v60
	v_add_f16_sdwa v60, v45, v67 dst_sel:DWORD dst_unused:UNUSED_PAD src0_sel:WORD_1 src1_sel:DWORD
	v_pk_mul_f16 v101, v29, s4 op_sel_hi:[1,0]
	v_pk_mul_f16 v48, v58, s0 op_sel_hi:[1,0]
	s_mov_b32 s1, 0xbbb2
	v_add_f16_e32 v57, v57, v60
	v_add_f16_sdwa v60, v46, v100 dst_sel:DWORD dst_unused:UNUSED_PAD src0_sel:WORD_1 src1_sel:DWORD
	v_pk_mul_f16 v102, v30, s10 op_sel_hi:[1,0]
	v_pk_mul_f16 v50, v61, s1 op_sel_hi:[1,0]
	s_movk_i32 s24, 0x3bf7
	v_add_f16_e32 v57, v57, v60
	v_add_f16_sdwa v60, v48, v101 dst_sel:DWORD dst_unused:UNUSED_PAD src0_sel:WORD_1 src1_sel:DWORD
	v_pk_mul_f16 v103, v32, s5 op_sel_hi:[1,0]
	v_pk_mul_f16 v51, v63, s24 op_sel_hi:[1,0]
	v_add_f16_e32 v57, v57, v60
	v_add_f16_sdwa v60, v50, v102 dst_sel:DWORD dst_unused:UNUSED_PAD src0_sel:WORD_1 src1_sel:DWORD
	v_add_f16_e32 v57, v57, v60
	v_add_f16_sdwa v60, v51, v103 dst_sel:DWORD dst_unused:UNUSED_PAD src0_sel:WORD_1 src1_sel:DWORD
	v_mul_f16_e32 v100, 0xb836, v36
	v_add_f16_e32 v57, v57, v60
	v_fma_f16 v60, v31, s17, -v100
	v_mul_f16_e32 v101, 0x3b29, v38
	v_add_f16_sdwa v60, v2, v60 dst_sel:DWORD dst_unused:UNUSED_PAD src0_sel:WORD_1 src1_sel:DWORD
	v_fma_f16 v65, v33, s4, -v101
	v_mul_f16_e32 v102, 0xbbf7, v41
	v_add_f16_e32 v60, v60, v65
	v_fma_f16 v65, v34, s5, -v102
	v_mul_f16_e32 v103, 0x3a62, v52
	v_add_f16_e32 v60, v60, v65
	;; [unrolled: 3-line block ×7, first 2 shown]
	v_fma_f16 v65, v39, s23, v108
	v_mul_f16_e32 v109, 0x3722, v25
	v_add_f16_e32 v65, v2, v65
	v_fma_f16 v67, v47, s0, v109
	v_mul_f16_e32 v110, 0x2de8, v26
	v_add_f16_e32 v65, v65, v67
	v_fma_f16 v67, v53, s21, v110
	v_mul_f16_e32 v111, 0xb8d2, v27
	v_add_f16_e32 v65, v65, v67
	v_fma_f16 v67, v56, s22, v111
	v_mul_f16_e32 v112, 0x3b76, v28
	v_add_f16_e32 v65, v65, v67
	v_fma_f16 v67, v59, s20, v112
	v_mul_f16_e32 v113, 0xbbdd, v29
	v_add_f16_e32 v65, v65, v67
	v_fma_f16 v67, v62, s19, v113
	v_mul_f16_e32 v114, 0x39e9, v30
	v_add_f16_e32 v65, v65, v67
	v_fma_f16 v67, v64, s18, v114
	v_mul_f16_e32 v115, 0xb461, v32
	v_add_f16_e32 v65, v65, v67
	v_fma_f16 v67, v66, s1, v115
	v_mul_f16_e32 v116, 0xba62, v36
	v_add_f16_e32 v65, v65, v67
	v_fma_f16 v67, v31, s6, -v116
	v_mul_f16_e32 v117, 0x3bb2, v38
	v_add_f16_sdwa v67, v2, v67 dst_sel:DWORD dst_unused:UNUSED_PAD src0_sel:WORD_1 src1_sel:DWORD
	v_fma_f16 v118, v33, s10, -v117
	v_add_f16_e32 v67, v67, v118
	v_mul_f16_e32 v118, 0xb5c8, v41
	v_fma_f16 v119, v34, s11, -v118
	v_add_f16_e32 v67, v67, v119
	v_mul_f16_e32 v119, 0xb836, v52
	;; [unrolled: 3-line block ×7, first 2 shown]
	v_fma_f16 v125, v23, s6, v124
	v_mul_f16_e32 v126, 0x3bb2, v47
	v_add_f16_e32 v125, v2, v125
	v_fma_f16 v127, v25, s10, v126
	v_add_f16_e32 v125, v125, v127
	v_mul_f16_e32 v127, 0xb5c8, v53
	v_fma_f16 v128, v26, s11, v127
	v_add_f16_e32 v125, v125, v128
	v_mul_f16_e32 v128, 0xb836, v56
	;; [unrolled: 3-line block ×7, first 2 shown]
	v_fma_f16 v134, v31, s10, -v133
	v_mul_f16_e32 v135, 0x3836, v38
	v_add_f16_sdwa v134, v2, v134 dst_sel:DWORD dst_unused:UNUSED_PAD src0_sel:WORD_1 src1_sel:DWORD
	v_fma_f16 v136, v33, s17, -v135
	v_add_f16_e32 v134, v134, v136
	v_mul_f16_e32 v136, 0x3964, v41
	v_fma_f16 v137, v34, s16, -v136
	v_add_f16_e32 v134, v134, v137
	v_mul_f16_e32 v137, 0xbb29, v52
	;; [unrolled: 3-line block ×7, first 2 shown]
	v_sub_f16_e32 v77, v142, v77
	v_mul_f16_e32 v142, 0xbbdd, v33
	v_sub_f16_e32 v82, v142, v82
	v_mul_f16_e32 v142, 0xb461, v34
	;; [unrolled: 2-line block ×8, first 2 shown]
	v_add_f16_e32 v75, v75, v142
	v_mul_f16_e32 v142, 0xbbdd, v25
	v_add_f16_e32 v78, v78, v142
	v_add_f16_e32 v75, v2, v75
	;; [unrolled: 1-line block ×3, first 2 shown]
	v_mul_f16_e32 v78, 0xb461, v26
	v_add_f16_e32 v78, v80, v78
	v_add_f16_e32 v75, v75, v78
	v_mul_f16_e32 v78, 0x3b76, v27
	v_add_f16_e32 v78, v84, v78
	v_add_f16_e32 v75, v75, v78
	v_mul_f16_e32 v78, 0x3722, v28
	v_add_f16_e32 v78, v88, v78
	v_add_f16_e32 v75, v75, v78
	v_mul_f16_e32 v78, 0xbacd, v29
	v_add_f16_e32 v78, v92, v78
	v_add_f16_e32 v75, v75, v78
	v_mul_f16_e32 v78, 0xb8d2, v30
	v_add_f16_e32 v78, v95, v78
	v_fma_f16 v100, v31, s17, v100
	v_add_f16_e32 v75, v75, v78
	v_mul_f16_e32 v78, 0x39e9, v32
	v_add_f16_sdwa v100, v2, v100 dst_sel:DWORD dst_unused:UNUSED_PAD src0_sel:WORD_1 src1_sel:DWORD
	v_fma_f16 v101, v33, s4, v101
	v_add_f16_e32 v78, v98, v78
	v_add_f16_e32 v100, v100, v101
	v_fma_f16 v101, v34, s5, v102
	v_add_f16_e32 v75, v75, v78
	v_mul_f16_e32 v78, 0x3722, v31
	v_add_f16_e32 v100, v100, v101
	v_fma_f16 v101, v35, s6, v103
	v_sub_f16_e32 v70, v78, v70
	v_mul_f16_e32 v78, 0xb8d2, v33
	v_add_f16_e32 v100, v100, v101
	v_fma_f16 v101, v37, s11, v104
	v_sub_f16_e32 v72, v78, v72
	v_add_f16_sdwa v70, v2, v70 dst_sel:DWORD dst_unused:UNUSED_PAD src0_sel:WORD_1 src1_sel:DWORD
	v_add_f16_e32 v100, v100, v101
	v_fma_f16 v101, v40, s7, v105
	v_add_f16_e32 v70, v70, v72
	v_mul_f16_e32 v72, 0xbbdd, v34
	v_add_f16_e32 v100, v100, v101
	v_fma_f16 v101, v49, s16, v106
	v_sub_f16_e32 v72, v72, v74
	v_add_f16_e32 v100, v100, v101
	v_fma_f16 v101, v54, s10, v107
	v_add_f16_e32 v70, v70, v72
	v_mul_f16_e32 v72, 0xb461, v35
	v_add_f16_e32 v100, v100, v101
	v_mul_f16_e32 v101, 0xb836, v39
	v_sub_f16_e32 v72, v72, v79
	v_pack_b32_f16 v101, v101, v42
	v_add_f16_e32 v70, v70, v72
	v_mul_f16_e32 v72, 0x39e9, v37
	v_pk_add_f16 v101, v108, v101 neg_lo:[0,1] neg_hi:[0,1]
	s_mov_b32 s0, 0xffff
	v_pk_fma_f16 v102, v23, s7, v42 op_sel:[0,0,1] op_sel_hi:[1,0,0]
	v_sub_f16_e32 v72, v72, v83
	v_bfi_b32 v101, s0, v101, v102
	v_mul_f16_e32 v102, 0x3b29, v47
	v_add_f16_e32 v70, v70, v72
	v_mul_f16_e32 v72, 0x3b76, v40
	v_pack_b32_f16 v102, v102, v43
	v_sub_f16_e32 v72, v72, v87
	v_pk_add_f16 v102, v109, v102 neg_lo:[0,1] neg_hi:[0,1]
	v_pk_fma_f16 v103, v25, s11, v43 op_sel:[0,0,1] op_sel_hi:[1,0,0]
	v_add_f16_e32 v70, v70, v72
	v_mul_f16_e32 v72, 0x2de8, v49
	v_bfi_b32 v102, s0, v102, v103
	v_mul_f16_e32 v103, 0xbbf7, v53
	v_sub_f16_e32 v72, v72, v91
	v_pack_b32_f16 v103, v103, v44
	v_add_f16_e32 v70, v70, v72
	v_mul_f16_e32 v72, 0xbacd, v54
	v_pk_add_f16 v103, v110, v103 neg_lo:[0,1] neg_hi:[0,1]
	v_pk_fma_f16 v104, v26, s17, v44 op_sel:[0,0,1] op_sel_hi:[1,0,0]
	v_sub_f16_e32 v72, v72, v93
	v_bfi_b32 v103, s0, v103, v104
	v_mul_f16_e32 v104, 0x3a62, v56
	v_add_f16_e32 v70, v70, v72
	v_mul_f16_e32 v72, 0x3722, v23
	v_mul_f16_e32 v74, 0x3b76, v29
	v_mul_f16_e32 v79, 0xb964, v39
	v_pack_b32_f16 v104, v104, v45
	v_add_f16_e32 v68, v68, v72
	v_mul_f16_e32 v72, 0xb8d2, v25
	v_add_f16_e32 v74, v81, v74
	v_fma_f16 v80, v23, s16, v79
	v_mul_f16_e32 v81, 0xbbf7, v47
	v_pk_add_f16 v104, v111, v104 neg_lo:[0,1] neg_hi:[0,1]
	v_pk_fma_f16 v105, v27, s16, v45 op_sel:[0,0,1] op_sel_hi:[1,0,0]
	v_add_f16_e32 v69, v69, v72
	v_mul_f16_e32 v72, 0xbbdd, v26
	v_add_f16_e32 v80, v2, v80
	v_fma_f16 v83, v25, s5, v81
	v_bfi_b32 v104, s0, v104, v105
	v_mul_f16_e32 v105, 0xb5c8, v59
	v_add_f16_e32 v71, v71, v72
	v_mul_f16_e32 v72, 0xb461, v27
	v_add_f16_e32 v80, v80, v83
	v_mul_f16_e32 v83, 0xba62, v53
	v_pack_b32_f16 v105, v105, v46
	v_add_f16_e32 v72, v73, v72
	v_mul_f16_e32 v73, 0x39e9, v28
	v_fma_f16 v84, v26, s6, v83
	v_pk_add_f16 v105, v112, v105 neg_lo:[0,1] neg_hi:[0,1]
	v_pk_fma_f16 v106, v28, s6, v46 op_sel:[0,0,1] op_sel_hi:[1,0,0]
	v_add_f16_e32 v73, v76, v73
	v_mul_f16_e32 v76, 0x2de8, v30
	v_add_f16_e32 v80, v80, v84
	v_mul_f16_e32 v84, 0xb1e1, v56
	v_bfi_b32 v105, s0, v105, v106
	v_mul_f16_e32 v106, 0xb1e1, v62
	v_add_f16_e32 v76, v85, v76
	v_fma_f16 v85, v27, s7, v84
	v_pack_b32_f16 v106, v106, v48
	v_add_f16_e32 v80, v80, v85
	v_mul_f16_e32 v85, 0x3836, v59
	v_pk_add_f16 v106, v113, v106 neg_lo:[0,1] neg_hi:[0,1]
	v_pk_fma_f16 v107, v29, s4, v48 op_sel:[0,0,1] op_sel_hi:[1,0,0]
	v_fma_f16 v87, v28, s17, v85
	v_bfi_b32 v106, s0, v106, v107
	v_mul_f16_e32 v107, 0x3964, v64
	v_add_f16_e32 v80, v80, v87
	v_mul_f16_e32 v87, 0x3bb2, v62
	v_pack_b32_f16 v107, v107, v50
	v_fma_f16 v88, v29, s10, v87
	v_pk_add_f16 v107, v114, v107 neg_lo:[0,1] neg_hi:[0,1]
	v_pk_fma_f16 v108, v30, s10, v50 op_sel:[0,0,1] op_sel_hi:[1,0,0]
	v_mul_f16_e32 v78, 0xbacd, v32
	v_add_f16_e32 v80, v80, v88
	v_mul_f16_e32 v88, 0x3b29, v64
	v_bfi_b32 v107, s0, v107, v108
	v_mul_f16_e32 v108, 0xbbb2, v66
	v_add_f16_e32 v78, v89, v78
	v_fma_f16 v89, v30, s4, v88
	v_pack_b32_f16 v108, v108, v51
	v_add_f16_e32 v80, v80, v89
	v_mul_f16_e32 v89, 0x35c8, v66
	v_pk_add_f16 v108, v115, v108 neg_lo:[0,1] neg_hi:[0,1]
	v_pk_fma_f16 v109, v32, s5, v51 op_sel:[0,0,1] op_sel_hi:[1,0,0]
	v_fma_f16 v91, v32, s11, v89
	v_bfi_b32 v108, s0, v108, v109
	v_fma_f16 v109, v31, s6, v116
	v_add_f16_e32 v80, v80, v91
	v_mul_f16_e32 v91, 0xb5c8, v36
	v_add_f16_sdwa v109, v2, v109 dst_sel:DWORD dst_unused:UNUSED_PAD src0_sel:WORD_1 src1_sel:DWORD
	v_fma_f16 v110, v33, s10, v117
	v_fma_f16 v92, v31, s11, -v91
	v_mul_f16_e32 v93, 0xb964, v38
	v_add_f16_e32 v109, v109, v110
	v_fma_f16 v110, v34, s11, v118
	v_add_f16_sdwa v92, v2, v92 dst_sel:DWORD dst_unused:UNUSED_PAD src0_sel:WORD_1 src1_sel:DWORD
	v_fma_f16 v95, v33, s16, -v93
	v_add_f16_e32 v109, v109, v110
	v_fma_f16 v110, v35, s17, v119
	v_add_f16_e32 v92, v92, v95
	v_mul_f16_e32 v95, 0xbb29, v41
	v_add_f16_e32 v109, v109, v110
	v_fma_f16 v110, v37, s5, v120
	v_fma_f16 v98, v34, s4, -v95
	v_add_f16_e32 v109, v109, v110
	v_fma_f16 v110, v40, s16, v121
	v_add_f16_e32 v92, v92, v98
	v_mul_f16_e32 v98, 0xbbf7, v52
	v_add_f16_e32 v109, v109, v110
	v_fma_f16 v110, v49, s7, v122
	v_fma_f16 v142, v35, s5, -v98
	v_add_f16_e32 v109, v109, v110
	v_fma_f16 v110, v54, s4, v123
	v_add_f16_e32 v92, v92, v142
	v_mul_f16_e32 v142, 0xbbb2, v55
	v_add_f16_e32 v109, v109, v110
	v_fma_f16 v110, v23, s6, -v124
	v_fma_f16 v143, v37, s10, -v142
	v_add_f16_e32 v110, v2, v110
	v_fma_f16 v111, v25, s10, -v126
	v_add_f16_e32 v92, v92, v143
	v_mul_f16_e32 v143, 0xba62, v58
	v_add_f16_e32 v110, v110, v111
	v_fma_f16 v111, v26, s11, -v127
	v_fma_f16 v144, v40, s6, -v143
	v_add_f16_e32 v110, v110, v111
	v_fma_f16 v111, v27, s17, -v128
	;; [unrolled: 7-line block ×4, first 2 shown]
	v_add_f16_e32 v92, v92, v146
	v_mul_f16_e32 v146, 0xb5c8, v39
	v_add_f16_e32 v110, v110, v111
	v_fma_f16 v111, v31, s10, v133
	v_fma_f16 v147, v23, s11, v146
	v_mul_f16_e32 v148, 0xb964, v47
	v_add_f16_sdwa v111, v2, v111 dst_sel:DWORD dst_unused:UNUSED_PAD src0_sel:WORD_1 src1_sel:DWORD
	v_fma_f16 v112, v33, s17, v135
	v_pk_add_f16 v17, v2, v17
	v_add_f16_e32 v147, v2, v147
	v_fma_f16 v149, v25, s16, v148
	v_add_f16_e32 v111, v111, v112
	v_fma_f16 v112, v34, s16, v136
	v_pk_add_f16 v4, v17, v4
	v_add_f16_e32 v147, v147, v149
	v_mul_f16_e32 v149, 0xbb29, v53
	v_add_f16_e32 v111, v111, v112
	v_fma_f16 v112, v35, s4, v137
	v_pk_add_f16 v4, v4, v5
	v_fma_f16 v150, v26, s4, v149
	v_add_f16_e32 v111, v111, v112
	v_fma_f16 v112, v37, s7, v138
	v_pk_add_f16 v4, v4, v7
	v_add_f16_e32 v147, v147, v150
	v_mul_f16_e32 v150, 0xbbf7, v56
	v_add_f16_e32 v111, v111, v112
	v_fma_f16 v112, v40, s5, v139
	v_pk_add_f16 v4, v4, v9
	v_fma_f16 v151, v27, s5, v150
	v_add_f16_e32 v111, v111, v112
	v_fma_f16 v112, v49, s11, v140
	v_pk_add_f16 v4, v4, v11
	v_add_f16_e32 v147, v147, v151
	v_mul_f16_e32 v151, 0xbbb2, v59
	v_add_f16_e32 v111, v111, v112
	v_fma_f16 v112, v54, s6, v141
	v_mul_f16_e32 v39, 0xbbb2, v39
	v_pk_add_f16 v4, v4, v13
	v_fma_f16 v152, v28, s10, v151
	v_add_f16_e32 v111, v111, v112
	v_mul_f16_e32 v47, 0x3836, v47
	v_fma_f16 v112, v23, s10, -v39
	v_pk_add_f16 v4, v4, v15
	v_add_f16_e32 v147, v147, v152
	v_mul_f16_e32 v152, 0xba62, v62
	v_add_f16_e32 v112, v2, v112
	v_fma_f16 v113, v25, s17, -v47
	v_mul_f16_e32 v53, 0x3964, v53
	v_pk_add_f16 v4, v4, v16
	v_fma_f16 v153, v29, s6, v152
	v_add_f16_e32 v112, v112, v113
	v_fma_f16 v113, v26, s16, -v53
	v_mul_f16_e32 v56, 0xbb29, v56
	v_pk_add_f16 v4, v14, v4
	v_add_f16_e32 v147, v147, v153
	v_mul_f16_e32 v153, 0xb836, v64
	v_add_f16_e32 v112, v112, v113
	v_fma_f16 v113, v27, s4, -v56
	v_mul_f16_e32 v59, 0xb1e1, v59
	v_pk_add_f16 v4, v12, v4
	v_fma_f16 v154, v30, s17, v153
	v_add_f16_e32 v112, v112, v113
	v_fma_f16 v113, v28, s7, -v59
	v_mul_f16_e32 v62, 0x3bf7, v62
	;; [unrolled: 11-line block ×3, first 2 shown]
	v_pk_add_f16 v4, v6, v4
	v_add_f16_e32 v147, v147, v155
	v_add_f16_e32 v112, v112, v113
	v_fma_f16 v113, v32, s6, -v66
	v_mul_f16_e32 v36, 0xb964, v36
	v_pk_add_f16 v4, v22, v4
	s_movk_i32 s1, 0x44
	v_add_f16_e32 v112, v112, v113
	v_mul_f16_e32 v38, 0xbbf7, v38
	v_fma_f16 v113, v31, s16, v36
	v_fma_f16 v36, v31, s16, -v36
	v_fma_f16 v31, v31, s11, v91
	v_pk_add_f16 v4, v24, v4
	v_mad_u32_u24 v8, v18, s1, 0
	v_pack_b32_f16 v5, v147, v92
	v_add_f16_sdwa v113, v2, v113 dst_sel:DWORD dst_unused:UNUSED_PAD src0_sel:WORD_1 src1_sel:DWORD
	v_fma_f16 v114, v33, s5, v38
	v_mul_f16_e32 v41, 0xba62, v41
	v_fma_f16 v38, v33, s5, -v38
	v_fma_f16 v33, v33, s16, v93
	v_add_f16_sdwa v31, v2, v31 dst_sel:DWORD dst_unused:UNUSED_PAD src0_sel:WORD_1 src1_sel:DWORD
	ds_write2_b32 v8, v4, v5 offset1:1
	v_pack_b32_f16 v4, v68, v36
	v_add_f16_e32 v113, v113, v114
	v_fma_f16 v114, v34, s6, v41
	v_mul_f16_e32 v52, 0xb1e1, v52
	v_add_f16_e32 v31, v31, v33
	v_fma_f16 v33, v34, s6, -v41
	v_pk_add_f16 v4, v2, v4
	v_pack_b32_f16 v5, v69, v38
	v_add_f16_e32 v113, v113, v114
	v_fma_f16 v114, v35, s7, v52
	v_mul_f16_e32 v55, 0x3836, v55
	v_fma_f16 v52, v35, s7, -v52
	v_pk_add_f16 v4, v4, v5
	v_pack_b32_f16 v5, v71, v33
	v_add_f16_e32 v113, v113, v114
	v_fma_f16 v114, v37, s17, v55
	v_mul_f16_e32 v58, 0x3bb2, v58
	;; [unrolled: 6-line block ×4, first 2 shown]
	v_fma_f16 v61, v49, s4, -v61
	v_pk_add_f16 v4, v4, v5
	v_pack_b32_f16 v5, v74, v58
	v_add_f16_e32 v113, v113, v114
	v_fma_f16 v114, v54, s11, v63
	v_fma_f16 v63, v54, s11, -v63
	v_pk_add_f16 v4, v4, v5
	v_pack_b32_f16 v5, v76, v61
	v_pk_add_f16 v4, v4, v5
	v_pack_b32_f16 v5, v78, v63
	v_pk_add_f16 v4, v4, v5
	v_fma_f16 v39, v23, s10, v39
	v_bfi_b32 v5, s0, v80, v4
	v_pack_b32_f16 v4, v4, v70
	v_fma_f16 v41, v25, s17, v47
	ds_write2_b32 v8, v5, v4 offset0:2 offset1:3
	v_pack_b32_f16 v4, v39, v77
	v_fma_f16 v47, v26, s16, v53
	v_pk_add_f16 v4, v2, v4
	v_pack_b32_f16 v5, v41, v82
	v_fma_f16 v53, v27, s4, v56
	v_pk_add_f16 v4, v4, v5
	;; [unrolled: 3-line block ×4, first 2 shown]
	v_pack_b32_f16 v5, v56, v94
	v_fma_f16 v34, v34, s4, v95
	v_fma_f16 v62, v30, s11, v64
	v_pk_add_f16 v4, v4, v5
	v_pack_b32_f16 v5, v59, v96
	v_fma_f16 v64, v32, s6, v66
	v_add_f16_e32 v31, v31, v34
	v_fma_f16 v34, v35, s5, v98
	v_pk_add_f16 v4, v4, v5
	v_pack_b32_f16 v5, v62, v97
	v_add_f16_e32 v31, v31, v34
	v_fma_f16 v34, v37, s10, v142
	v_pk_add_f16 v4, v4, v5
	v_pack_b32_f16 v5, v64, v99
	v_add_f16_e32 v31, v31, v34
	v_fma_f16 v34, v40, s6, v143
	v_pk_add_f16 v4, v4, v5
	v_add_f16_e32 v31, v31, v34
	v_fma_f16 v34, v49, s17, v144
	v_bfi_b32 v5, s0, v75, v4
	v_pack_b32_f16 v4, v4, v134
	v_add_f16_e32 v31, v31, v34
	v_fma_f16 v34, v54, s7, v145
	ds_write2_b32 v8, v5, v4 offset0:4 offset1:5
	v_pack_b32_f16 v4, v65, v60
	v_pack_b32_f16 v5, v125, v67
	v_fma_f16 v79, v23, s16, -v79
	v_add_f16_e32 v31, v31, v34
	v_fma_f16 v34, v23, s11, -v146
	ds_write2_b32 v8, v5, v4 offset0:6 offset1:7
	ds_write_b16 v8, v57 offset:32
	v_pk_fma_f16 v4, v23, s7, v42 op_sel:[0,0,1] op_sel_hi:[1,0,0] neg_lo:[0,0,1] neg_hi:[0,0,1]
	v_add_f16_e32 v79, v2, v79
	v_add_f16_e32 v34, v2, v34
	v_pk_add_f16 v4, v2, v4
	v_pk_fma_f16 v5, v25, s11, v43 op_sel:[0,0,1] op_sel_hi:[1,0,0] neg_lo:[0,0,1] neg_hi:[0,0,1]
	v_pk_add_f16 v2, v2, v101
	v_fma_f16 v81, v25, s5, -v81
	v_fma_f16 v35, v25, s16, -v148
	v_pk_add_f16 v4, v4, v5
	v_pk_fma_f16 v5, v26, s17, v44 op_sel:[0,0,1] op_sel_hi:[1,0,0] neg_lo:[0,0,1] neg_hi:[0,0,1]
	v_pk_add_f16 v2, v2, v102
	v_add_f16_e32 v79, v79, v81
	v_fma_f16 v81, v26, s6, -v83
	v_add_f16_e32 v34, v34, v35
	v_fma_f16 v35, v26, s4, -v149
	v_pk_add_f16 v4, v4, v5
	v_pk_fma_f16 v5, v27, s16, v45 op_sel:[0,0,1] op_sel_hi:[1,0,0] neg_lo:[0,0,1] neg_hi:[0,0,1]
	v_pk_add_f16 v2, v2, v103
	v_add_f16_e32 v79, v79, v81
	v_fma_f16 v81, v27, s7, -v84
	v_add_f16_e32 v34, v34, v35
	;; [unrolled: 7-line block ×6, first 2 shown]
	v_fma_f16 v35, v32, s7, -v154
	v_pk_add_f16 v4, v4, v5
	v_pk_add_f16 v2, v2, v108
	v_add_f16_e32 v113, v113, v114
	v_add_f16_e32 v79, v79, v81
	;; [unrolled: 1-line block ×3, first 2 shown]
	v_alignbit_b32 v5, v2, v2, 16
	v_pack_b32_f16 v7, v109, v112
	v_pack_b32_f16 v6, v100, v110
	v_alignbit_b32 v4, v4, v4, 16
	s_mov_b32 s0, 0x5040100
	ds_write_b128 v8, v[4:7] offset:34
	v_pack_b32_f16 v7, v113, v34
	v_perm_b32 v5, v19, v21, s0
	v_perm_b32 v6, v79, v20, s0
	;; [unrolled: 1-line block ×3, first 2 shown]
	ds_write_b128 v8, v[4:7] offset:50
	ds_write_b16 v8, v31 offset:66
.LBB0_13:
	s_or_b64 exec, exec, s[2:3]
	s_movk_i32 s0, 0xf1
	v_mul_lo_u16_sdwa v2, v18, s0 dst_sel:DWORD dst_unused:UNUSED_PAD src0_sel:BYTE_0 src1_sel:DWORD
	v_lshrrev_b16_e32 v5, 12, v2
	v_mul_lo_u16_e32 v2, 17, v5
	v_sub_u16_e32 v6, v18, v2
	v_mov_b32_e32 v2, 12
	v_mul_u32_u24_sdwa v2, v6, v2 dst_sel:DWORD dst_unused:UNUSED_PAD src0_sel:BYTE_0 src1_sel:DWORD
	v_lshlrev_b32_e32 v2, 2, v2
	s_waitcnt lgkmcnt(0)
	; wave barrier
	s_waitcnt lgkmcnt(0)
	global_load_dwordx4 v[7:10], v2, s[8:9]
	global_load_dwordx4 v[22:25], v2, s[8:9] offset:16
	global_load_dwordx4 v[26:29], v2, s[8:9] offset:32
	v_lshl_add_u32 v4, v18, 2, 0
	ds_read2_b32 v[11:12], v4 offset1:51
	ds_read2_b32 v[15:16], v4 offset0:102 offset1:153
	ds_read2_b32 v[30:31], v4 offset0:204 offset1:255
	v_add_u32_e32 v14, 0x400, v4
	v_add_u32_e32 v2, 0x600, v4
	ds_read_b32 v13, v4 offset:2448
	ds_read2_b32 v[32:33], v14 offset0:50 offset1:101
	ds_read2_b32 v[34:35], v14 offset0:152 offset1:203
	;; [unrolled: 1-line block ×3, first 2 shown]
	s_waitcnt lgkmcnt(6)
	v_lshrrev_b32_e32 v38, 16, v12
	s_waitcnt lgkmcnt(3)
	v_lshrrev_b32_e32 v17, 16, v13
	v_lshrrev_b32_e32 v39, 16, v15
	;; [unrolled: 1-line block ×4, first 2 shown]
	s_waitcnt lgkmcnt(2)
	v_lshrrev_b32_e32 v42, 16, v32
	v_lshrrev_b32_e32 v43, 16, v33
	s_waitcnt lgkmcnt(1)
	v_lshrrev_b32_e32 v44, 16, v34
	v_lshrrev_b32_e32 v45, 16, v35
	;; [unrolled: 3-line block ×3, first 2 shown]
	v_lshrrev_b32_e32 v41, 16, v30
	s_mov_b32 s6, 0xb770
	s_movk_i32 s7, 0x3b15
	s_movk_i32 s10, 0x3770
	s_mov_b32 s3, 0xba95
	s_movk_i32 s4, 0x388b
	s_movk_i32 s5, 0x3a95
	;; [unrolled: 3-line block ×3, first 2 shown]
	s_mov_b32 s11, 0xbb7b
	s_mov_b32 s16, 0xb5ac
	s_movk_i32 s17, 0x3b7b
	s_mov_b32 s18, 0xb94e
	s_mov_b32 s19, 0xb9fd
	s_movk_i32 s20, 0x394e
	;; [unrolled: 3-line block ×3, first 2 shown]
	v_mul_u32_u24_e32 v5, 0x374, v5
	s_waitcnt lgkmcnt(0)
	; wave barrier
	s_waitcnt vmcnt(2)
	v_mul_f16_sdwa v48, v7, v38 dst_sel:DWORD dst_unused:UNUSED_PAD src0_sel:WORD_1 src1_sel:DWORD
	v_mul_f16_sdwa v49, v7, v12 dst_sel:DWORD dst_unused:UNUSED_PAD src0_sel:WORD_1 src1_sel:DWORD
	;; [unrolled: 1-line block ×3, first 2 shown]
	s_waitcnt vmcnt(0)
	v_mul_f16_sdwa v70, v17, v29 dst_sel:DWORD dst_unused:UNUSED_PAD src0_sel:DWORD src1_sel:WORD_1
	v_mul_f16_sdwa v71, v13, v29 dst_sel:DWORD dst_unused:UNUSED_PAD src0_sel:DWORD src1_sel:WORD_1
	v_fma_f16 v12, v7, v12, v48
	v_mul_f16_sdwa v51, v8, v15 dst_sel:DWORD dst_unused:UNUSED_PAD src0_sel:WORD_1 src1_sel:DWORD
	v_mul_f16_sdwa v52, v9, v40 dst_sel:DWORD dst_unused:UNUSED_PAD src0_sel:WORD_1 src1_sel:DWORD
	v_mul_f16_sdwa v56, v2, v22 dst_sel:DWORD dst_unused:UNUSED_PAD src0_sel:DWORD src1_sel:WORD_1
	v_mul_f16_sdwa v57, v31, v22 dst_sel:DWORD dst_unused:UNUSED_PAD src0_sel:DWORD src1_sel:WORD_1
	;; [unrolled: 1-line block ×8, first 2 shown]
	v_fma_f16 v7, v7, v38, -v49
	v_fma_f16 v15, v8, v15, v50
	v_fma_f16 v13, v13, v29, v70
	v_fma_f16 v17, v17, v29, -v71
	v_add_f16_e32 v29, v12, v11
	v_mul_f16_sdwa v53, v9, v16 dst_sel:DWORD dst_unused:UNUSED_PAD src0_sel:WORD_1 src1_sel:DWORD
	v_mul_f16_sdwa v54, v10, v41 dst_sel:DWORD dst_unused:UNUSED_PAD src0_sel:WORD_1 src1_sel:DWORD
	v_mul_f16_sdwa v59, v32, v23 dst_sel:DWORD dst_unused:UNUSED_PAD src0_sel:DWORD src1_sel:WORD_1
	v_mul_f16_sdwa v61, v33, v24 dst_sel:DWORD dst_unused:UNUSED_PAD src0_sel:DWORD src1_sel:WORD_1
	;; [unrolled: 1-line block ×6, first 2 shown]
	v_fma_f16 v8, v8, v39, -v51
	v_fma_f16 v16, v9, v16, v52
	v_fma_f16 v31, v31, v22, v56
	v_fma_f16 v2, v2, v22, -v57
	v_fma_f16 v22, v32, v23, v58
	v_fma_f16 v32, v33, v24, v60
	;; [unrolled: 1-line block ×6, first 2 shown]
	v_add_f16_sdwa v37, v7, v11 dst_sel:DWORD dst_unused:UNUSED_PAD src0_sel:DWORD src1_sel:WORD_1
	v_add_f16_e32 v29, v29, v15
	v_mul_f16_sdwa v55, v10, v30 dst_sel:DWORD dst_unused:UNUSED_PAD src0_sel:WORD_1 src1_sel:DWORD
	v_fma_f16 v9, v9, v40, -v53
	v_fma_f16 v30, v10, v30, v54
	v_add_f16_e32 v37, v37, v8
	v_add_f16_e32 v29, v29, v16
	v_fma_f16 v10, v10, v41, -v55
	v_add_f16_e32 v37, v37, v9
	v_add_f16_e32 v29, v29, v30
	;; [unrolled: 1-line block ×4, first 2 shown]
	v_fma_f16 v23, v42, v23, -v59
	v_add_f16_e32 v37, v37, v2
	v_add_f16_e32 v29, v29, v22
	v_fma_f16 v24, v43, v24, -v61
	v_add_f16_e32 v37, v37, v23
	v_add_f16_e32 v29, v29, v32
	;; [unrolled: 3-line block ×6, first 2 shown]
	v_add_f16_e32 v39, v7, v17
	v_sub_f16_e32 v7, v7, v17
	v_add_f16_e32 v37, v37, v28
	v_add_f16_e32 v29, v29, v13
	;; [unrolled: 1-line block ×3, first 2 shown]
	v_sub_f16_e32 v12, v12, v13
	v_mul_f16_e32 v13, 0xb770, v7
	v_mul_f16_e32 v40, 0x3b15, v39
	;; [unrolled: 1-line block ×12, first 2 shown]
	v_add_f16_e32 v37, v37, v17
	v_fma_f16 v17, v38, s7, v13
	v_fma_f16 v41, v12, s10, v40
	v_fma_f16 v13, v38, s7, -v13
	v_fma_f16 v40, v12, s6, v40
	v_fma_f16 v43, v38, s4, v42
	v_fma_f16 v45, v12, s5, v44
	v_fma_f16 v42, v38, s4, -v42
	v_fma_f16 v44, v12, s3, v44
	;; [unrolled: 4-line block ×6, first 2 shown]
	v_add_f16_e32 v38, v8, v28
	v_sub_f16_e32 v8, v8, v28
	v_add_f16_e32 v17, v17, v11
	v_add_f16_sdwa v41, v41, v11 dst_sel:DWORD dst_unused:UNUSED_PAD src0_sel:DWORD src1_sel:WORD_1
	v_add_f16_e32 v13, v13, v11
	v_add_f16_sdwa v40, v40, v11 dst_sel:DWORD dst_unused:UNUSED_PAD src0_sel:DWORD src1_sel:WORD_1
	;; [unrolled: 2-line block ×12, first 2 shown]
	v_add_f16_e32 v12, v15, v36
	v_mul_f16_e32 v28, 0xba95, v8
	v_sub_f16_e32 v15, v15, v36
	v_fma_f16 v36, v12, s4, v28
	v_add_f16_e32 v17, v36, v17
	v_mul_f16_e32 v36, 0x388b, v38
	v_fma_f16 v28, v12, s4, -v28
	v_fma_f16 v39, v15, s5, v36
	v_add_f16_e32 v13, v28, v13
	v_fma_f16 v28, v15, s3, v36
	v_mul_f16_e32 v36, 0xbb7b, v8
	v_add_f16_e32 v39, v39, v41
	v_add_f16_e32 v28, v28, v40
	v_fma_f16 v40, v12, s16, v36
	v_mul_f16_e32 v41, 0xb5ac, v38
	v_fma_f16 v36, v12, s16, -v36
	v_add_f16_e32 v40, v40, v43
	v_fma_f16 v43, v15, s17, v41
	v_add_f16_e32 v36, v36, v42
	v_fma_f16 v41, v15, s11, v41
	v_mul_f16_e32 v42, 0xb3a8, v8
	v_add_f16_e32 v43, v43, v45
	v_add_f16_e32 v41, v41, v44
	v_fma_f16 v44, v12, s22, v42
	v_mul_f16_e32 v45, 0xbbc4, v38
	v_fma_f16 v42, v12, s22, -v42
	v_add_f16_e32 v44, v44, v47
	;; [unrolled: 10-line block ×3, first 2 shown]
	v_fma_f16 v51, v15, s18, v49
	v_add_f16_e32 v46, v46, v50
	v_fma_f16 v49, v15, s20, v49
	v_mul_f16_e32 v50, 0x3bf1, v8
	v_add_f16_e32 v49, v49, v52
	v_fma_f16 v52, v12, s1, v50
	v_fma_f16 v50, v12, s1, -v50
	v_mul_f16_e32 v8, 0x3770, v8
	v_add_f16_e32 v51, v51, v53
	v_mul_f16_e32 v53, 0x2fb7, v38
	v_add_f16_e32 v50, v50, v54
	v_fma_f16 v54, v12, s7, v8
	v_mul_f16_e32 v38, 0x3b15, v38
	v_fma_f16 v8, v12, s7, -v8
	v_add_f16_e32 v52, v52, v55
	v_fma_f16 v55, v15, s0, v53
	v_fma_f16 v53, v15, s2, v53
	v_add_f16_e32 v7, v8, v7
	v_fma_f16 v8, v15, s10, v38
	v_add_f16_e32 v12, v9, v27
	v_sub_f16_e32 v9, v9, v27
	v_add_f16_e32 v53, v53, v56
	v_fma_f16 v56, v15, s6, v38
	v_add_f16_e32 v8, v8, v11
	v_add_f16_e32 v11, v16, v35
	v_sub_f16_e32 v15, v16, v35
	v_mul_f16_e32 v16, 0xbbf1, v9
	v_fma_f16 v27, v11, s1, v16
	v_add_f16_e32 v17, v27, v17
	v_mul_f16_e32 v27, 0x2fb7, v12
	v_fma_f16 v16, v11, s1, -v16
	v_fma_f16 v35, v15, s2, v27
	v_add_f16_e32 v13, v16, v13
	v_fma_f16 v16, v15, s0, v27
	v_mul_f16_e32 v27, 0xb3a8, v9
	v_add_f16_e32 v16, v16, v28
	v_fma_f16 v28, v11, s22, v27
	v_mul_f16_e32 v38, 0xbbc4, v12
	v_fma_f16 v27, v11, s22, -v27
	v_add_f16_e32 v35, v35, v39
	v_fma_f16 v39, v15, s23, v38
	v_add_f16_e32 v27, v27, v36
	v_fma_f16 v36, v15, s21, v38
	v_mul_f16_e32 v38, 0x3b7b, v9
	v_add_f16_e32 v28, v28, v40
	v_fma_f16 v40, v11, s16, v38
	v_fma_f16 v38, v11, s16, -v38
	v_add_f16_e32 v36, v36, v41
	v_mul_f16_e32 v41, 0xb5ac, v12
	v_add_f16_e32 v38, v38, v42
	v_mul_f16_e32 v42, 0x3770, v9
	v_add_f16_e32 v39, v39, v43
	v_add_f16_e32 v40, v40, v44
	v_fma_f16 v43, v15, s11, v41
	v_fma_f16 v41, v15, s17, v41
	;; [unrolled: 1-line block ×3, first 2 shown]
	v_fma_f16 v42, v11, s7, -v42
	v_add_f16_e32 v41, v41, v45
	v_mul_f16_e32 v45, 0x3b15, v12
	v_add_f16_e32 v42, v42, v46
	v_mul_f16_e32 v46, 0xba95, v9
	v_add_f16_e32 v43, v43, v47
	v_add_f16_e32 v44, v44, v48
	v_fma_f16 v47, v15, s6, v45
	v_fma_f16 v45, v15, s10, v45
	;; [unrolled: 1-line block ×3, first 2 shown]
	v_fma_f16 v46, v11, s4, -v46
	v_mul_f16_e32 v9, 0xb94e, v9
	v_add_f16_e32 v45, v45, v49
	v_mul_f16_e32 v49, 0x388b, v12
	v_add_f16_e32 v46, v46, v50
	v_fma_f16 v50, v11, s19, v9
	v_mul_f16_e32 v12, 0xb9fd, v12
	v_fma_f16 v9, v11, s19, -v9
	v_add_f16_e32 v7, v9, v7
	v_fma_f16 v9, v15, s18, v12
	v_add_f16_e32 v11, v10, v26
	v_sub_f16_e32 v10, v10, v26
	v_add_f16_e32 v47, v47, v51
	v_add_f16_e32 v48, v48, v52
	v_fma_f16 v51, v15, s5, v49
	v_fma_f16 v49, v15, s3, v49
	;; [unrolled: 1-line block ×3, first 2 shown]
	v_add_f16_e32 v8, v9, v8
	v_add_f16_e32 v9, v30, v34
	v_mul_f16_e32 v15, 0xbb7b, v10
	v_fma_f16 v26, v9, s16, v15
	v_sub_f16_e32 v12, v30, v34
	v_add_f16_e32 v17, v26, v17
	v_mul_f16_e32 v26, 0xb5ac, v11
	v_fma_f16 v15, v9, s16, -v15
	v_add_f16_e32 v13, v15, v13
	v_fma_f16 v15, v12, s11, v26
	v_add_f16_e32 v15, v15, v16
	v_mul_f16_e32 v16, 0x394e, v10
	v_fma_f16 v30, v12, s17, v26
	v_fma_f16 v26, v9, s19, v16
	v_add_f16_e32 v26, v26, v28
	v_mul_f16_e32 v28, 0xb9fd, v11
	v_fma_f16 v16, v9, s19, -v16
	v_fma_f16 v34, v12, s18, v28
	v_add_f16_e32 v16, v16, v27
	v_fma_f16 v27, v12, s20, v28
	v_mul_f16_e32 v28, 0x3770, v10
	v_add_f16_e32 v30, v30, v35
	v_fma_f16 v35, v9, s7, v28
	v_fma_f16 v28, v9, s7, -v28
	v_add_f16_e32 v27, v27, v36
	v_mul_f16_e32 v36, 0x3b15, v11
	v_add_f16_e32 v28, v28, v38
	v_mul_f16_e32 v38, 0xbbf1, v10
	v_add_f16_e32 v34, v34, v39
	v_add_f16_e32 v35, v35, v40
	v_fma_f16 v39, v12, s6, v36
	v_fma_f16 v36, v12, s10, v36
	;; [unrolled: 1-line block ×3, first 2 shown]
	v_fma_f16 v38, v9, s1, -v38
	v_add_f16_e32 v36, v36, v41
	v_mul_f16_e32 v41, 0x2fb7, v11
	v_add_f16_e32 v38, v38, v42
	v_mul_f16_e32 v42, 0x33a8, v10
	v_add_f16_e32 v39, v39, v43
	v_add_f16_e32 v40, v40, v44
	v_fma_f16 v43, v12, s2, v41
	v_fma_f16 v41, v12, s0, v41
	v_fma_f16 v44, v9, s22, v42
	v_fma_f16 v42, v9, s22, -v42
	v_mul_f16_e32 v10, 0x3a95, v10
	v_add_f16_e32 v41, v41, v45
	v_mul_f16_e32 v45, 0xbbc4, v11
	v_add_f16_e32 v42, v42, v46
	v_fma_f16 v46, v9, s4, v10
	v_mul_f16_e32 v11, 0x388b, v11
	v_fma_f16 v9, v9, s4, -v10
	v_add_f16_e32 v7, v9, v7
	v_fma_f16 v9, v12, s5, v11
	v_add_f16_e32 v10, v2, v25
	v_sub_f16_e32 v2, v2, v25
	v_add_f16_e32 v43, v43, v47
	v_add_f16_e32 v44, v44, v48
	v_fma_f16 v47, v12, s21, v45
	v_fma_f16 v45, v12, s23, v45
	;; [unrolled: 1-line block ×3, first 2 shown]
	v_add_f16_e32 v8, v9, v8
	v_add_f16_e32 v9, v31, v33
	v_mul_f16_e32 v12, 0xb94e, v2
	v_fma_f16 v25, v9, s19, v12
	v_sub_f16_e32 v11, v31, v33
	v_add_f16_e32 v17, v25, v17
	v_mul_f16_e32 v25, 0xb9fd, v10
	v_fma_f16 v12, v9, s19, -v12
	v_add_f16_e32 v12, v12, v13
	v_fma_f16 v13, v11, s18, v25
	v_add_f16_e32 v13, v13, v15
	v_mul_f16_e32 v15, 0x3bf1, v2
	v_fma_f16 v31, v11, s20, v25
	v_fma_f16 v25, v9, s1, v15
	v_add_f16_e32 v25, v25, v26
	v_mul_f16_e32 v26, 0x2fb7, v10
	v_fma_f16 v15, v9, s1, -v15
	v_add_f16_e32 v30, v31, v30
	v_fma_f16 v31, v11, s0, v26
	v_add_f16_e32 v15, v15, v16
	v_fma_f16 v16, v11, s2, v26
	v_mul_f16_e32 v26, 0xba95, v2
	v_add_f16_e32 v16, v16, v27
	v_fma_f16 v27, v9, s4, v26
	v_mul_f16_e32 v33, 0x388b, v10
	v_fma_f16 v26, v9, s4, -v26
	v_add_f16_e32 v31, v31, v34
	v_fma_f16 v34, v11, s5, v33
	v_add_f16_e32 v26, v26, v28
	v_fma_f16 v28, v11, s3, v33
	v_mul_f16_e32 v33, 0x33a8, v2
	v_add_f16_e32 v27, v27, v35
	v_fma_f16 v35, v9, s22, v33
	v_fma_f16 v33, v9, s22, -v33
	v_add_f16_e32 v28, v28, v36
	v_mul_f16_e32 v36, 0xbbc4, v10
	v_add_f16_e32 v33, v33, v38
	v_mul_f16_e32 v38, 0x3770, v2
	v_add_f16_e32 v34, v34, v39
	v_add_f16_e32 v35, v35, v40
	v_fma_f16 v39, v11, s21, v36
	v_fma_f16 v36, v11, s23, v36
	;; [unrolled: 1-line block ×3, first 2 shown]
	v_fma_f16 v38, v9, s7, -v38
	v_mul_f16_e32 v2, 0xbb7b, v2
	v_add_f16_e32 v36, v36, v41
	v_mul_f16_e32 v41, 0x3b15, v10
	v_add_f16_e32 v38, v38, v42
	v_fma_f16 v42, v9, s16, v2
	v_mul_f16_e32 v10, 0xb5ac, v10
	v_fma_f16 v2, v9, s16, -v2
	v_add_f16_e32 v40, v40, v44
	v_fma_f16 v44, v11, s17, v10
	v_add_f16_e32 v7, v2, v7
	v_fma_f16 v2, v11, s11, v10
	v_add_f16_e32 v10, v23, v24
	v_sub_f16_e32 v23, v23, v24
	v_add_f16_e32 v8, v2, v8
	v_add_f16_e32 v9, v22, v32
	v_mul_f16_e32 v2, 0xb3a8, v23
	v_add_f16_e32 v39, v39, v43
	v_fma_f16 v43, v11, s6, v41
	v_fma_f16 v41, v11, s10, v41
	v_sub_f16_e32 v11, v22, v32
	v_fma_f16 v22, v9, s22, v2
	v_add_f16_e32 v17, v22, v17
	v_mul_f16_e32 v22, 0xbbc4, v10
	v_fma_f16 v2, v9, s22, -v2
	v_add_f16_e32 v2, v2, v12
	v_fma_f16 v12, v11, s21, v22
	v_fma_f16 v24, v11, s23, v22
	v_add_f16_e32 v22, v12, v13
	v_mul_f16_e32 v12, 0x3770, v23
	v_fma_f16 v13, v9, s7, v12
	v_add_f16_e32 v13, v13, v25
	v_mul_f16_e32 v25, 0x3b15, v10
	v_fma_f16 v12, v9, s7, -v12
	v_add_f16_e32 v12, v12, v15
	v_fma_f16 v15, v11, s10, v25
	v_add_f16_e32 v15, v15, v16
	v_mul_f16_e32 v16, 0xb94e, v23
	v_add_f16_e32 v24, v24, v30
	v_fma_f16 v30, v11, s6, v25
	v_fma_f16 v25, v9, s19, v16
	v_add_f16_e32 v25, v25, v27
	v_mul_f16_e32 v27, 0xb9fd, v10
	v_fma_f16 v16, v9, s19, -v16
	v_add_f16_e32 v30, v30, v31
	v_fma_f16 v31, v11, s20, v27
	v_add_f16_e32 v16, v16, v26
	v_fma_f16 v26, v11, s18, v27
	v_mul_f16_e32 v27, 0x3a95, v23
	v_add_f16_e32 v26, v26, v28
	v_fma_f16 v28, v9, s4, v27
	v_fma_f16 v27, v9, s4, -v27
	v_mul_f16_e32 v32, 0x388b, v10
	v_add_f16_e32 v27, v27, v33
	v_mul_f16_e32 v33, 0xbb7b, v23
	v_add_f16_e32 v31, v31, v34
	v_add_f16_e32 v28, v28, v35
	v_fma_f16 v34, v11, s3, v32
	v_fma_f16 v32, v11, s5, v32
	;; [unrolled: 1-line block ×3, first 2 shown]
	v_fma_f16 v33, v9, s16, -v33
	v_mul_f16_e32 v23, 0x3bf1, v23
	v_add_f16_e32 v32, v32, v36
	v_mul_f16_e32 v36, 0xb5ac, v10
	v_add_f16_e32 v33, v33, v38
	v_fma_f16 v38, v9, s1, v23
	v_mul_f16_e32 v10, 0x2fb7, v10
	v_fma_f16 v9, v9, s1, -v23
	v_add_f16_e32 v55, v55, v57
	v_add_f16_e32 v7, v9, v7
	v_fma_f16 v9, v11, s2, v10
	v_add_f16_e32 v54, v54, v58
	v_add_f16_e32 v56, v56, v59
	;; [unrolled: 1-line block ×4, first 2 shown]
	v_mov_b32_e32 v9, 2
	v_add_f16_e32 v50, v50, v54
	v_add_f16_e32 v52, v52, v56
	v_add_f16_e32 v47, v47, v51
	v_lshlrev_b32_sdwa v6, v9, v6 dst_sel:DWORD dst_unused:UNUSED_PAD src0_sel:DWORD src1_sel:BYTE_0
	v_add_f16_e32 v49, v49, v53
	v_add_f16_e32 v46, v46, v50
	;; [unrolled: 1-line block ×5, first 2 shown]
	v_fma_f16 v39, v11, s17, v36
	v_add3_u32 v5, 0, v5, v6
	v_pack_b32_f16 v6, v29, v37
	v_pack_b32_f16 v9, v17, v24
	v_add_f16_e32 v45, v45, v49
	v_add_f16_e32 v42, v42, v46
	;; [unrolled: 1-line block ×5, first 2 shown]
	v_fma_f16 v40, v11, s0, v10
	ds_write2_b32 v5, v6, v9 offset1:17
	v_pack_b32_f16 v6, v13, v30
	v_pack_b32_f16 v9, v25, v31
	v_add_f16_e32 v41, v41, v45
	v_fma_f16 v36, v11, s11, v36
	v_add_f16_e32 v38, v38, v42
	v_add_f16_e32 v40, v40, v44
	ds_write2_b32 v5, v6, v9 offset0:34 offset1:51
	v_pack_b32_f16 v6, v28, v34
	v_pack_b32_f16 v9, v35, v39
	v_add_f16_e32 v36, v36, v41
	ds_write2_b32 v5, v6, v9 offset0:68 offset1:85
	v_pack_b32_f16 v6, v38, v40
	v_pack_b32_f16 v7, v7, v8
	ds_write2_b32 v5, v6, v7 offset0:102 offset1:119
	v_pack_b32_f16 v6, v33, v36
	v_pack_b32_f16 v7, v27, v32
	;; [unrolled: 3-line block ×3, first 2 shown]
	ds_write2_b32 v5, v6, v7 offset0:170 offset1:187
	v_pack_b32_f16 v6, v2, v22
	ds_write_b32 v5, v6 offset:816
	v_add_u32_e32 v5, 0x200, v4
	s_waitcnt lgkmcnt(0)
	; wave barrier
	s_waitcnt lgkmcnt(0)
	ds_read2_b32 v[6:7], v4 offset1:51
	ds_read2_b32 v[8:9], v5 offset0:93 offset1:144
	ds_read2_b32 v[10:11], v14 offset0:186 offset1:237
	ds_read2_b32 v[12:13], v4 offset0:102 offset1:153
	ds_read2_b32 v[14:15], v14 offset0:67 offset1:118
	v_add_u32_e32 v5, 0x800, v4
	ds_read2_b32 v[16:17], v5 offset0:32 offset1:83
	v_cmp_gt_u32_e64 s[0:1], 17, v18
	s_and_saveexec_b64 s[2:3], s[0:1]
	s_cbranch_execz .LBB0_15
; %bb.14:
	v_add_u32_e32 v2, 0x300, v4
	ds_read2_b32 v[2:3], v2 offset0:12 offset1:233
	ds_read_b32 v19, v4 offset:2584
	s_waitcnt lgkmcnt(1)
	v_lshrrev_b32_e32 v22, 16, v2
	v_lshrrev_b32_e32 v21, 16, v3
	s_waitcnt lgkmcnt(0)
	v_lshrrev_b32_e32 v20, 16, v19
.LBB0_15:
	s_or_b64 exec, exec, s[2:3]
	s_and_saveexec_b64 s[2:3], vcc
	s_cbranch_execz .LBB0_18
; %bb.16:
	v_add_u32_e32 v31, 0x99, v18
	v_lshlrev_b32_e32 v4, 1, v31
	v_mov_b32_e32 v5, 0
	v_lshlrev_b64 v[23:24], 2, v[4:5]
	v_add_u32_e32 v33, 0x66, v18
	v_lshlrev_b32_e32 v4, 1, v33
	v_mov_b32_e32 v32, s9
	v_add_co_u32_e32 v23, vcc, s8, v23
	v_lshlrev_b64 v[25:26], 2, v[4:5]
	v_add_u32_e32 v34, 51, v18
	v_addc_co_u32_e32 v24, vcc, v32, v24, vcc
	v_lshlrev_b32_e32 v4, 1, v34
	global_load_dwordx2 v[23:24], v[23:24], off offset:816
	v_add_co_u32_e32 v25, vcc, s8, v25
	v_lshlrev_b64 v[27:28], 2, v[4:5]
	v_addc_co_u32_e32 v26, vcc, v32, v26, vcc
	global_load_dwordx2 v[25:26], v[25:26], off offset:816
	v_add_co_u32_e32 v27, vcc, s8, v27
	v_addc_co_u32_e32 v28, vcc, v32, v28, vcc
	global_load_dwordx2 v[27:28], v[27:28], off offset:816
	v_lshlrev_b32_e32 v4, 1, v18
	v_lshlrev_b64 v[29:30], 2, v[4:5]
	s_waitcnt lgkmcnt(0)
	v_lshrrev_b32_e32 v37, 16, v17
	v_add_co_u32_e32 v29, vcc, s8, v29
	v_addc_co_u32_e32 v30, vcc, v32, v30, vcc
	global_load_dwordx2 v[29:30], v[29:30], off offset:816
	v_lshrrev_b32_e32 v38, 16, v15
	v_lshrrev_b32_e32 v36, 16, v13
	;; [unrolled: 1-line block ×4, first 2 shown]
	s_mov_b32 s2, 0xbaee
	s_movk_i32 s3, 0x3aee
	v_lshrrev_b32_e32 v41, 16, v9
	v_lshrrev_b32_e32 v42, 16, v11
	;; [unrolled: 1-line block ×5, first 2 shown]
	v_add_co_u32_e32 v0, vcc, s14, v0
	s_mov_b32 s7, 0x288b0129
	s_movk_i32 s6, 0x1ba
	s_waitcnt vmcnt(3)
	v_mul_f16_sdwa v45, v23, v38 dst_sel:DWORD dst_unused:UNUSED_PAD src0_sel:WORD_1 src1_sel:DWORD
	v_mul_f16_sdwa v46, v37, v24 dst_sel:DWORD dst_unused:UNUSED_PAD src0_sel:DWORD src1_sel:WORD_1
	v_mul_f16_sdwa v43, v23, v15 dst_sel:DWORD dst_unused:UNUSED_PAD src0_sel:WORD_1 src1_sel:DWORD
	v_mul_f16_sdwa v44, v17, v24 dst_sel:DWORD dst_unused:UNUSED_PAD src0_sel:DWORD src1_sel:WORD_1
	v_fma_f16 v15, v23, v15, v45
	v_fma_f16 v17, v17, v24, v46
	v_fma_f16 v38, v23, v38, -v43
	v_fma_f16 v37, v37, v24, -v44
	v_add_f16_e32 v48, v15, v17
	s_waitcnt vmcnt(2)
	v_mul_f16_sdwa v23, v25, v14 dst_sel:DWORD dst_unused:UNUSED_PAD src0_sel:WORD_1 src1_sel:DWORD
	v_mul_f16_sdwa v24, v26, v16 dst_sel:DWORD dst_unused:UNUSED_PAD src0_sel:WORD_1 src1_sel:DWORD
	;; [unrolled: 1-line block ×4, first 2 shown]
	v_add_f16_e32 v45, v38, v37
	v_sub_f16_e32 v46, v15, v17
	v_add_f16_e32 v47, v36, v38
	v_sub_f16_e32 v38, v38, v37
	v_add_f16_e32 v15, v13, v15
	v_fma_f16 v13, v48, -0.5, v13
	v_fma_f16 v23, v25, v39, -v23
	v_fma_f16 v24, v26, v40, -v24
	v_fma_f16 v14, v25, v14, v43
	v_fma_f16 v16, v26, v16, v44
	s_waitcnt vmcnt(1)
	v_mul_f16_sdwa v25, v27, v9 dst_sel:DWORD dst_unused:UNUSED_PAD src0_sel:WORD_1 src1_sel:DWORD
	v_fma_f16 v44, v38, s3, v13
	v_fma_f16 v13, v38, s2, v13
	v_mul_f16_sdwa v38, v27, v41 dst_sel:DWORD dst_unused:UNUSED_PAD src0_sel:WORD_1 src1_sel:DWORD
	v_add_f16_e32 v15, v15, v17
	v_add_f16_e32 v17, v23, v24
	v_fma_f16 v25, v27, v41, -v25
	v_fma_f16 v9, v27, v9, v38
	v_mul_f16_sdwa v27, v28, v42 dst_sel:DWORD dst_unused:UNUSED_PAD src0_sel:WORD_1 src1_sel:DWORD
	v_sub_f16_e32 v40, v23, v24
	v_add_f16_e32 v23, v35, v23
	v_fma_f16 v17, v17, -0.5, v35
	v_mul_f16_sdwa v35, v28, v11 dst_sel:DWORD dst_unused:UNUSED_PAD src0_sel:WORD_1 src1_sel:DWORD
	v_fma_f16 v11, v28, v11, v27
	v_fma_f16 v26, v45, -0.5, v36
	v_add_f16_e32 v36, v47, v37
	v_sub_f16_e32 v37, v14, v16
	v_add_f16_e32 v39, v14, v16
	v_add_f16_e32 v14, v12, v14
	v_fma_f16 v35, v28, v42, -v35
	v_add_f16_e32 v38, v9, v11
	v_add_f16_e32 v14, v14, v16
	v_fma_f16 v16, v37, s2, v17
	v_fma_f16 v17, v37, s3, v17
	v_add_f16_e32 v37, v25, v35
	v_fma_f16 v38, v38, -0.5, v7
	v_add_f16_e32 v7, v7, v9
	v_fma_f16 v12, v39, -0.5, v12
	v_fma_f16 v37, v37, -0.5, v32
	v_sub_f16_e32 v27, v9, v11
	v_sub_f16_e32 v39, v25, v35
	v_add_f16_e32 v25, v32, v25
	v_add_f16_e32 v32, v7, v11
	v_lshrrev_b32_e32 v7, 16, v8
	s_waitcnt vmcnt(0)
	v_mul_f16_sdwa v9, v29, v8 dst_sel:DWORD dst_unused:UNUSED_PAD src0_sel:WORD_1 src1_sel:DWORD
	v_fma_f16 v9, v29, v7, -v9
	v_lshrrev_b32_e32 v11, 16, v10
	v_mul_f16_sdwa v7, v29, v7 dst_sel:DWORD dst_unused:UNUSED_PAD src0_sel:WORD_1 src1_sel:DWORD
	v_fma_f16 v29, v29, v8, v7
	v_mul_f16_sdwa v7, v30, v11 dst_sel:DWORD dst_unused:UNUSED_PAD src0_sel:WORD_1 src1_sel:DWORD
	v_add_f16_e32 v25, v25, v35
	v_mul_f16_sdwa v35, v30, v10 dst_sel:DWORD dst_unused:UNUSED_PAD src0_sel:WORD_1 src1_sel:DWORD
	v_fma_f16 v10, v30, v10, v7
	v_add_f16_e32 v7, v29, v10
	v_add_f16_e32 v23, v23, v24
	v_fma_f16 v24, v40, s3, v12
	v_fma_f16 v12, v40, s2, v12
	;; [unrolled: 1-line block ×6, first 2 shown]
	v_fma_f16 v39, v7, -0.5, v6
	v_mad_u64_u32 v[7:8], s[4:5], s12, v18, 0
	v_fma_f16 v35, v30, v11, -v35
	v_add_f16_e32 v38, v9, v35
	v_fma_f16 v38, v38, -0.5, v4
	v_sub_f16_e32 v11, v29, v10
	v_fma_f16 v30, v11, s2, v38
	v_fma_f16 v38, v11, s3, v38
	v_add_f16_e32 v11, v4, v9
	v_mov_b32_e32 v4, v8
	v_sub_f16_e32 v41, v9, v35
	v_mad_u64_u32 v[8:9], s[4:5], s13, v18, v[4:5]
	v_add_f16_e32 v35, v11, v35
	v_add_f16_e32 v4, v6, v29
	v_add_u32_e32 v11, 0xdd, v18
	v_add_f16_e32 v29, v4, v10
	v_mad_u64_u32 v[9:10], s[4:5], s12, v11, 0
	v_mov_b32_e32 v4, s15
	v_addc_co_u32_e32 v1, vcc, v4, v1, vcc
	v_mov_b32_e32 v4, v10
	v_lshlrev_b64 v[6:7], 2, v[7:8]
	v_mad_u64_u32 v[10:11], s[4:5], s13, v11, v[4:5]
	v_add_co_u32_e32 v6, vcc, v0, v6
	v_addc_co_u32_e32 v7, vcc, v1, v7, vcc
	v_pack_b32_f16 v4, v29, v35
	global_store_dword v[6:7], v4, off
	v_lshlrev_b64 v[6:7], 2, v[9:10]
	v_add_u32_e32 v10, 0x1ba, v18
	v_mad_u64_u32 v[8:9], s[4:5], s12, v10, 0
	v_fma_f16 v42, v41, s3, v39
	v_fma_f16 v39, v41, s2, v39
	v_mov_b32_e32 v4, v9
	v_mad_u64_u32 v[9:10], s[4:5], s13, v10, v[4:5]
	v_add_co_u32_e32 v6, vcc, v0, v6
	v_addc_co_u32_e32 v7, vcc, v1, v7, vcc
	v_pack_b32_f16 v4, v39, v38
	global_store_dword v[6:7], v4, off
	v_lshlrev_b64 v[6:7], 2, v[8:9]
	v_mad_u64_u32 v[8:9], s[4:5], s12, v34, 0
	v_pack_b32_f16 v29, v42, v30
	v_add_u32_e32 v30, 0x110, v18
	v_mov_b32_e32 v4, v9
	v_mad_u64_u32 v[9:10], s[4:5], s13, v34, v[4:5]
	v_mad_u64_u32 v[10:11], s[4:5], s12, v30, 0
	v_add_co_u32_e32 v6, vcc, v0, v6
	v_addc_co_u32_e32 v7, vcc, v1, v7, vcc
	v_mov_b32_e32 v4, v11
	global_store_dword v[6:7], v29, off
	v_lshlrev_b64 v[6:7], 2, v[8:9]
	v_mad_u64_u32 v[8:9], s[4:5], s13, v30, v[4:5]
	v_add_co_u32_e32 v6, vcc, v0, v6
	v_addc_co_u32_e32 v7, vcc, v1, v7, vcc
	v_pack_b32_f16 v4, v32, v25
	v_mov_b32_e32 v11, v8
	global_store_dword v[6:7], v4, off
	v_lshlrev_b64 v[6:7], 2, v[10:11]
	v_add_u32_e32 v10, 0x1ed, v18
	v_mad_u64_u32 v[8:9], s[4:5], s12, v10, 0
	v_add_co_u32_e32 v6, vcc, v0, v6
	v_mov_b32_e32 v4, v9
	v_mad_u64_u32 v[9:10], s[4:5], s13, v10, v[4:5]
	v_mul_hi_u32 v4, v33, s7
	v_addc_co_u32_e32 v7, vcc, v1, v7, vcc
	v_pack_b32_f16 v11, v37, v27
	global_store_dword v[6:7], v11, off
	v_lshlrev_b64 v[6:7], 2, v[8:9]
	v_sub_u32_e32 v8, v33, v4
	v_lshrrev_b32_e32 v8, 1, v8
	v_add_u32_e32 v4, v8, v4
	v_lshrrev_b32_e32 v4, 7, v4
	v_mad_u32_u24 v25, v4, s6, v33
	v_mad_u64_u32 v[8:9], s[4:5], s12, v25, 0
	v_pack_b32_f16 v27, v40, v28
	v_add_u32_e32 v28, 0xdd, v25
	v_mov_b32_e32 v4, v9
	v_mad_u64_u32 v[9:10], s[4:5], s13, v25, v[4:5]
	v_mad_u64_u32 v[10:11], s[4:5], s12, v28, 0
	v_add_co_u32_e32 v6, vcc, v0, v6
	v_addc_co_u32_e32 v7, vcc, v1, v7, vcc
	v_mov_b32_e32 v4, v11
	global_store_dword v[6:7], v27, off
	v_lshlrev_b64 v[6:7], 2, v[8:9]
	v_mad_u64_u32 v[8:9], s[4:5], s13, v28, v[4:5]
	v_add_co_u32_e32 v6, vcc, v0, v6
	v_addc_co_u32_e32 v7, vcc, v1, v7, vcc
	v_pack_b32_f16 v4, v14, v23
	v_mov_b32_e32 v11, v8
	global_store_dword v[6:7], v4, off
	v_lshlrev_b64 v[6:7], 2, v[10:11]
	v_add_u32_e32 v10, 0x1ba, v25
	v_mad_u64_u32 v[8:9], s[4:5], s12, v10, 0
	v_mul_hi_u32 v11, v31, s7
	v_add_co_u32_e32 v6, vcc, v0, v6
	v_mov_b32_e32 v4, v9
	v_mad_u64_u32 v[9:10], s[4:5], s13, v10, v[4:5]
	v_sub_u32_e32 v4, v31, v11
	v_lshrrev_b32_e32 v4, 1, v4
	v_add_u32_e32 v4, v4, v11
	v_lshrrev_b32_e32 v4, 7, v4
	v_mad_u32_u24 v14, v4, s6, v31
	v_mad_u64_u32 v[10:11], s[4:5], s12, v14, 0
	v_addc_co_u32_e32 v7, vcc, v1, v7, vcc
	v_pack_b32_f16 v12, v12, v17
	v_mov_b32_e32 v4, v11
	global_store_dword v[6:7], v12, off
	v_lshlrev_b64 v[6:7], 2, v[8:9]
	v_mad_u64_u32 v[8:9], s[4:5], s13, v14, v[4:5]
	v_add_co_u32_e32 v6, vcc, v0, v6
	v_addc_co_u32_e32 v7, vcc, v1, v7, vcc
	v_pack_b32_f16 v4, v24, v16
	v_mov_b32_e32 v11, v8
	global_store_dword v[6:7], v4, off
	v_lshlrev_b64 v[6:7], 2, v[10:11]
	v_add_u32_e32 v10, 0xdd, v14
	v_mad_u64_u32 v[8:9], s[4:5], s12, v10, 0
	v_add_u32_e32 v14, 0x1ba, v14
	v_add_co_u32_e32 v6, vcc, v0, v6
	v_mov_b32_e32 v4, v9
	v_mad_u64_u32 v[9:10], s[4:5], s13, v10, v[4:5]
	v_mad_u64_u32 v[10:11], s[4:5], s12, v14, 0
	v_addc_co_u32_e32 v7, vcc, v1, v7, vcc
	v_pack_b32_f16 v12, v15, v36
	v_mov_b32_e32 v4, v11
	global_store_dword v[6:7], v12, off
	v_lshlrev_b64 v[6:7], 2, v[8:9]
	v_mad_u64_u32 v[8:9], s[4:5], s13, v14, v[4:5]
	v_fma_f16 v43, v46, s2, v26
	v_fma_f16 v26, v46, s3, v26
	v_add_co_u32_e32 v6, vcc, v0, v6
	v_addc_co_u32_e32 v7, vcc, v1, v7, vcc
	v_pack_b32_f16 v4, v13, v26
	v_mov_b32_e32 v11, v8
	global_store_dword v[6:7], v4, off
	v_lshlrev_b64 v[6:7], 2, v[10:11]
	v_pack_b32_f16 v4, v44, v43
	v_add_co_u32_e32 v6, vcc, v0, v6
	v_addc_co_u32_e32 v7, vcc, v1, v7, vcc
	global_store_dword v[6:7], v4, off
	s_and_b64 exec, exec, s[0:1]
	s_cbranch_execz .LBB0_18
; %bb.17:
	v_add_u32_e32 v12, 0xcc, v18
	v_subrev_u32_e32 v4, 17, v18
	v_cndmask_b32_e64 v4, v4, v12, s[0:1]
	v_lshlrev_b32_e32 v4, 1, v4
	v_lshlrev_b64 v[4:5], 2, v[4:5]
	v_mov_b32_e32 v6, s9
	v_add_co_u32_e32 v4, vcc, s8, v4
	v_addc_co_u32_e32 v5, vcc, v6, v5, vcc
	global_load_dwordx2 v[4:5], v[4:5], off offset:816
	v_add_u32_e32 v14, 0x1a9, v18
	v_mad_u64_u32 v[6:7], s[0:1], s12, v12, 0
	v_mad_u64_u32 v[8:9], s[0:1], s12, v14, 0
	v_add_u32_e32 v15, 0x286, v18
	v_mad_u64_u32 v[10:11], s[0:1], s12, v15, 0
	v_mad_u64_u32 v[12:13], s[0:1], s13, v12, v[7:8]
	;; [unrolled: 1-line block ×4, first 2 shown]
	v_mov_b32_e32 v7, v12
	v_lshlrev_b64 v[6:7], 2, v[6:7]
	v_mov_b32_e32 v9, v13
	v_lshlrev_b64 v[8:9], 2, v[8:9]
	v_add_co_u32_e32 v6, vcc, v0, v6
	v_mov_b32_e32 v11, v14
	v_addc_co_u32_e32 v7, vcc, v1, v7, vcc
	v_lshlrev_b64 v[10:11], 2, v[10:11]
	v_add_co_u32_e32 v8, vcc, v0, v8
	v_addc_co_u32_e32 v9, vcc, v1, v9, vcc
	v_add_co_u32_e32 v0, vcc, v0, v10
	v_addc_co_u32_e32 v1, vcc, v1, v11, vcc
	s_waitcnt vmcnt(0)
	v_mul_f16_sdwa v10, v21, v4 dst_sel:DWORD dst_unused:UNUSED_PAD src0_sel:DWORD src1_sel:WORD_1
	v_mul_f16_sdwa v11, v3, v4 dst_sel:DWORD dst_unused:UNUSED_PAD src0_sel:DWORD src1_sel:WORD_1
	;; [unrolled: 1-line block ×4, first 2 shown]
	v_fma_f16 v3, v3, v4, v10
	v_fma_f16 v4, v21, v4, -v11
	v_fma_f16 v10, v19, v5, v12
	v_fma_f16 v5, v20, v5, -v13
	v_add_f16_e32 v11, v2, v3
	v_add_f16_e32 v12, v3, v10
	v_sub_f16_e32 v13, v4, v5
	v_add_f16_e32 v14, v22, v4
	v_add_f16_e32 v4, v4, v5
	v_sub_f16_e32 v3, v3, v10
	v_add_f16_e32 v10, v11, v10
	v_fma_f16 v2, v12, -0.5, v2
	v_add_f16_e32 v5, v14, v5
	v_fma_f16 v4, v4, -0.5, v22
	v_fma_f16 v11, v13, s2, v2
	v_fma_f16 v12, v3, s3, v4
	;; [unrolled: 1-line block ×3, first 2 shown]
	v_pack_b32_f16 v4, v10, v5
	v_fma_f16 v2, v13, s3, v2
	global_store_dword v[6:7], v4, off
	v_pack_b32_f16 v4, v11, v12
	v_pack_b32_f16 v2, v2, v3
	global_store_dword v[8:9], v4, off
	global_store_dword v[0:1], v2, off
.LBB0_18:
	s_endpgm
	.section	.rodata,"a",@progbits
	.p2align	6, 0x0
	.amdhsa_kernel fft_rtc_back_len663_factors_17_13_3_wgs_51_tpt_51_half_ip_CI_sbrr_dirReg
		.amdhsa_group_segment_fixed_size 0
		.amdhsa_private_segment_fixed_size 0
		.amdhsa_kernarg_size 88
		.amdhsa_user_sgpr_count 6
		.amdhsa_user_sgpr_private_segment_buffer 1
		.amdhsa_user_sgpr_dispatch_ptr 0
		.amdhsa_user_sgpr_queue_ptr 0
		.amdhsa_user_sgpr_kernarg_segment_ptr 1
		.amdhsa_user_sgpr_dispatch_id 0
		.amdhsa_user_sgpr_flat_scratch_init 0
		.amdhsa_user_sgpr_private_segment_size 0
		.amdhsa_uses_dynamic_stack 0
		.amdhsa_system_sgpr_private_segment_wavefront_offset 0
		.amdhsa_system_sgpr_workgroup_id_x 1
		.amdhsa_system_sgpr_workgroup_id_y 0
		.amdhsa_system_sgpr_workgroup_id_z 0
		.amdhsa_system_sgpr_workgroup_info 0
		.amdhsa_system_vgpr_workitem_id 0
		.amdhsa_next_free_vgpr 156
		.amdhsa_next_free_sgpr 26
		.amdhsa_reserve_vcc 1
		.amdhsa_reserve_flat_scratch 0
		.amdhsa_float_round_mode_32 0
		.amdhsa_float_round_mode_16_64 0
		.amdhsa_float_denorm_mode_32 3
		.amdhsa_float_denorm_mode_16_64 3
		.amdhsa_dx10_clamp 1
		.amdhsa_ieee_mode 1
		.amdhsa_fp16_overflow 0
		.amdhsa_exception_fp_ieee_invalid_op 0
		.amdhsa_exception_fp_denorm_src 0
		.amdhsa_exception_fp_ieee_div_zero 0
		.amdhsa_exception_fp_ieee_overflow 0
		.amdhsa_exception_fp_ieee_underflow 0
		.amdhsa_exception_fp_ieee_inexact 0
		.amdhsa_exception_int_div_zero 0
	.end_amdhsa_kernel
	.text
.Lfunc_end0:
	.size	fft_rtc_back_len663_factors_17_13_3_wgs_51_tpt_51_half_ip_CI_sbrr_dirReg, .Lfunc_end0-fft_rtc_back_len663_factors_17_13_3_wgs_51_tpt_51_half_ip_CI_sbrr_dirReg
                                        ; -- End function
	.section	.AMDGPU.csdata,"",@progbits
; Kernel info:
; codeLenInByte = 12968
; NumSgprs: 30
; NumVgprs: 156
; ScratchSize: 0
; MemoryBound: 0
; FloatMode: 240
; IeeeMode: 1
; LDSByteSize: 0 bytes/workgroup (compile time only)
; SGPRBlocks: 3
; VGPRBlocks: 38
; NumSGPRsForWavesPerEU: 30
; NumVGPRsForWavesPerEU: 156
; Occupancy: 1
; WaveLimiterHint : 1
; COMPUTE_PGM_RSRC2:SCRATCH_EN: 0
; COMPUTE_PGM_RSRC2:USER_SGPR: 6
; COMPUTE_PGM_RSRC2:TRAP_HANDLER: 0
; COMPUTE_PGM_RSRC2:TGID_X_EN: 1
; COMPUTE_PGM_RSRC2:TGID_Y_EN: 0
; COMPUTE_PGM_RSRC2:TGID_Z_EN: 0
; COMPUTE_PGM_RSRC2:TIDIG_COMP_CNT: 0
	.type	__hip_cuid_221450885f34947,@object ; @__hip_cuid_221450885f34947
	.section	.bss,"aw",@nobits
	.globl	__hip_cuid_221450885f34947
__hip_cuid_221450885f34947:
	.byte	0                               ; 0x0
	.size	__hip_cuid_221450885f34947, 1

	.ident	"AMD clang version 19.0.0git (https://github.com/RadeonOpenCompute/llvm-project roc-6.4.0 25133 c7fe45cf4b819c5991fe208aaa96edf142730f1d)"
	.section	".note.GNU-stack","",@progbits
	.addrsig
	.addrsig_sym __hip_cuid_221450885f34947
	.amdgpu_metadata
---
amdhsa.kernels:
  - .args:
      - .actual_access:  read_only
        .address_space:  global
        .offset:         0
        .size:           8
        .value_kind:     global_buffer
      - .offset:         8
        .size:           8
        .value_kind:     by_value
      - .actual_access:  read_only
        .address_space:  global
        .offset:         16
        .size:           8
        .value_kind:     global_buffer
      - .actual_access:  read_only
        .address_space:  global
        .offset:         24
        .size:           8
        .value_kind:     global_buffer
      - .offset:         32
        .size:           8
        .value_kind:     by_value
      - .actual_access:  read_only
        .address_space:  global
        .offset:         40
        .size:           8
        .value_kind:     global_buffer
      - .actual_access:  read_only
        .address_space:  global
        .offset:         48
        .size:           8
        .value_kind:     global_buffer
      - .offset:         56
        .size:           4
        .value_kind:     by_value
      - .actual_access:  read_only
        .address_space:  global
        .offset:         64
        .size:           8
        .value_kind:     global_buffer
      - .actual_access:  read_only
        .address_space:  global
        .offset:         72
        .size:           8
        .value_kind:     global_buffer
      - .address_space:  global
        .offset:         80
        .size:           8
        .value_kind:     global_buffer
    .group_segment_fixed_size: 0
    .kernarg_segment_align: 8
    .kernarg_segment_size: 88
    .language:       OpenCL C
    .language_version:
      - 2
      - 0
    .max_flat_workgroup_size: 51
    .name:           fft_rtc_back_len663_factors_17_13_3_wgs_51_tpt_51_half_ip_CI_sbrr_dirReg
    .private_segment_fixed_size: 0
    .sgpr_count:     30
    .sgpr_spill_count: 0
    .symbol:         fft_rtc_back_len663_factors_17_13_3_wgs_51_tpt_51_half_ip_CI_sbrr_dirReg.kd
    .uniform_work_group_size: 1
    .uses_dynamic_stack: false
    .vgpr_count:     156
    .vgpr_spill_count: 0
    .wavefront_size: 64
amdhsa.target:   amdgcn-amd-amdhsa--gfx906
amdhsa.version:
  - 1
  - 2
...

	.end_amdgpu_metadata
